;; amdgpu-corpus repo=zjin-lcf/HeCBench kind=compiled arch=gfx906 opt=O3
	.amdgcn_target "amdgcn-amd-amdhsa--gfx906"
	.amdhsa_code_object_version 6
	.text
	.protected	_Z7entropyPfPKcii       ; -- Begin function _Z7entropyPfPKcii
	.globl	_Z7entropyPfPKcii
	.p2align	8
	.type	_Z7entropyPfPKcii,@function
_Z7entropyPfPKcii:                      ; @_Z7entropyPfPKcii
; %bb.0:
	s_load_dword s0, s[4:5], 0x24
	s_load_dwordx4 s[56:59], s[4:5], 0x8
	v_mov_b32_e32 v16, 0
	v_mov_b32_e32 v15, 0
	;; [unrolled: 1-line block ×3, first 2 shown]
	s_waitcnt lgkmcnt(0)
	s_lshr_b32 s1, s0, 16
	s_mul_i32 s7, s7, s1
	s_and_b32 s0, s0, 0xffff
	v_add_u32_e32 v23, s7, v1
	s_mul_i32 s6, s6, s0
	v_add_u32_e32 v1, -2, v23
	v_add_u32_e32 v0, s6, v0
	v_cmp_lt_i32_e32 vcc, 1, v23
	v_cmp_gt_i32_e64 s[0:1], s58, v1
	v_mul_lo_u32 v18, v1, s59
	s_and_b64 s[48:49], vcc, s[0:1]
	v_add_u32_e32 v22, -2, v0
	v_cmp_lt_i32_e64 s[18:19], 1, v0
	s_and_b64 s[0:1], s[18:19], s[48:49]
	v_cmp_gt_i32_e64 s[20:21], s59, v22
	s_and_b64 s[2:3], s[20:21], s[0:1]
	v_mov_b32_e32 v13, 0
	v_mov_b32_e32 v12, 0
	;; [unrolled: 1-line block ×14, first 2 shown]
	s_and_saveexec_b64 s[0:1], s[2:3]
	s_cbranch_execz .LBB0_2
; %bb.1:
	v_add_u32_e32 v1, v22, v18
	global_load_sbyte v16, v1, s[56:57]
	v_mov_b32_e32 v17, 1
	s_waitcnt vmcnt(0)
	v_cmp_eq_u32_e32 vcc, 15, v16
	v_cndmask_b32_e64 v7, 0, 1, vcc
	v_cmp_eq_u32_e32 vcc, 14, v16
	v_cndmask_b32_e64 v6, 0, 1, vcc
	;; [unrolled: 2-line block ×16, first 2 shown]
.LBB0_2:
	s_or_b64 exec, exec, s[0:1]
	v_cmp_lt_i32_e32 vcc, 0, v0
	s_and_b64 s[0:1], vcc, s[48:49]
	v_cmp_ge_i32_e64 s[6:7], s59, v0
	v_add_u32_e32 v19, -1, v0
	s_and_b64 s[0:1], s[6:7], s[0:1]
	s_and_saveexec_b64 s[40:41], s[0:1]
	s_cbranch_execz .LBB0_4
; %bb.3:
	v_add_u32_e32 v20, v19, v18
	global_load_sbyte v20, v20, s[56:57]
	v_add_u16_e32 v17, 1, v17
	s_waitcnt vmcnt(0)
	v_cmp_eq_u32_e64 s[0:1], 1, v20
	v_cndmask_b32_e64 v21, v16, v15, s[0:1]
	v_cmp_eq_u32_e64 s[2:3], 2, v20
	v_cndmask_b32_e64 v21, v21, v14, s[2:3]
	;; [unrolled: 2-line block ×15, first 2 shown]
	v_add_u16_e32 v21, 1, v21
	v_cndmask_b32_e64 v15, v15, v21, s[0:1]
	v_cmp_eq_u32_e64 s[0:1], 0, v20
	v_cndmask_b32_e64 v7, v7, v21, s[38:39]
	v_cndmask_b32_e64 v6, v6, v21, s[36:37]
	;; [unrolled: 1-line block ×15, first 2 shown]
.LBB0_4:
	s_or_b64 exec, exec, s[40:41]
	v_cmp_lt_i32_e64 s[8:9], -1, v0
	s_and_b64 s[2:3], s[8:9], s[48:49]
	v_cmp_gt_i32_e64 s[0:1], s59, v0
	s_and_b64 s[2:3], s[0:1], s[2:3]
	s_and_saveexec_b64 s[44:45], s[2:3]
	s_cbranch_execz .LBB0_6
; %bb.5:
	v_add_u32_e32 v20, v0, v18
	global_load_sbyte v20, v20, s[56:57]
	v_add_u16_e32 v17, 1, v17
	s_waitcnt vmcnt(0)
	v_cmp_eq_u32_e64 s[2:3], 1, v20
	v_cndmask_b32_e64 v21, v16, v15, s[2:3]
	v_cmp_eq_u32_e64 s[10:11], 2, v20
	v_cndmask_b32_e64 v21, v21, v14, s[10:11]
	;; [unrolled: 2-line block ×15, first 2 shown]
	v_add_u16_e32 v21, 1, v21
	v_cndmask_b32_e64 v15, v15, v21, s[2:3]
	v_cmp_eq_u32_e64 s[2:3], 0, v20
	v_cndmask_b32_e64 v7, v7, v21, s[42:43]
	v_cndmask_b32_e64 v6, v6, v21, s[40:41]
	;; [unrolled: 1-line block ×15, first 2 shown]
.LBB0_6:
	s_or_b64 exec, exec, s[44:45]
	v_add_u32_e32 v20, 1, v0
	v_cmp_lt_i32_e64 s[10:11], -2, v0
	s_and_b64 s[2:3], s[10:11], s[48:49]
	v_cmp_gt_i32_e64 s[12:13], s59, v20
	s_and_b64 s[2:3], s[12:13], s[2:3]
	s_and_saveexec_b64 s[50:51], s[2:3]
	s_cbranch_execz .LBB0_8
; %bb.7:
	v_add_u32_e32 v21, v20, v18
	global_load_sbyte v21, v21, s[56:57]
	v_add_u16_e32 v17, 1, v17
	s_waitcnt vmcnt(0)
	v_cmp_eq_u32_e64 s[2:3], 1, v21
	v_cndmask_b32_e64 v24, v16, v15, s[2:3]
	v_cmp_eq_u32_e64 s[14:15], 2, v21
	v_cndmask_b32_e64 v24, v24, v14, s[14:15]
	;; [unrolled: 2-line block ×15, first 2 shown]
	v_add_u16_e32 v24, 1, v24
	v_cndmask_b32_e64 v15, v15, v24, s[2:3]
	v_cmp_eq_u32_e64 s[2:3], 0, v21
	v_cndmask_b32_e64 v7, v7, v24, s[46:47]
	v_cndmask_b32_e64 v6, v6, v24, s[44:45]
	;; [unrolled: 1-line block ×15, first 2 shown]
.LBB0_8:
	s_or_b64 exec, exec, s[50:51]
	v_add_u32_e32 v21, 2, v0
	v_cmp_lt_i32_e64 s[14:15], -3, v0
	s_and_b64 s[2:3], s[14:15], s[48:49]
	v_cmp_gt_i32_e64 s[16:17], s59, v21
	s_and_b64 s[2:3], s[16:17], s[2:3]
	s_and_saveexec_b64 s[52:53], s[2:3]
	s_cbranch_execz .LBB0_10
; %bb.9:
	v_add_u32_e32 v24, v21, v18
	global_load_sbyte v24, v24, s[56:57]
	v_add_u16_e32 v17, 1, v17
	s_waitcnt vmcnt(0)
	v_cmp_eq_u32_e64 s[2:3], 1, v24
	v_cndmask_b32_e64 v25, v16, v15, s[2:3]
	v_cmp_eq_u32_e64 s[22:23], 2, v24
	v_cndmask_b32_e64 v25, v25, v14, s[22:23]
	;; [unrolled: 2-line block ×15, first 2 shown]
	v_add_u16_e32 v25, 1, v25
	v_cndmask_b32_e64 v15, v15, v25, s[2:3]
	v_cmp_eq_u32_e64 s[2:3], 0, v24
	v_cndmask_b32_e64 v7, v7, v25, s[50:51]
	v_cndmask_b32_e64 v6, v6, v25, s[48:49]
	;; [unrolled: 1-line block ×15, first 2 shown]
.LBB0_10:
	s_or_b64 exec, exec, s[52:53]
	v_cmp_lt_i32_e64 s[2:3], 0, v23
	v_cmp_ge_i32_e64 s[22:23], s58, v23
	s_and_b64 s[52:53], s[2:3], s[22:23]
	s_and_b64 s[2:3], s[18:19], s[52:53]
	v_add_u32_e32 v18, s59, v18
	s_and_b64 s[2:3], s[20:21], s[2:3]
	s_and_saveexec_b64 s[54:55], s[2:3]
	s_cbranch_execz .LBB0_12
; %bb.11:
	v_add_u32_e32 v24, v22, v18
	global_load_sbyte v24, v24, s[56:57]
	v_add_u16_e32 v17, 1, v17
	s_waitcnt vmcnt(0)
	v_cmp_eq_u32_e64 s[2:3], 1, v24
	v_cndmask_b32_e64 v25, v16, v15, s[2:3]
	v_cmp_eq_u32_e64 s[22:23], 2, v24
	v_cndmask_b32_e64 v25, v25, v14, s[22:23]
	v_cmp_eq_u32_e64 s[24:25], 3, v24
	v_cndmask_b32_e64 v25, v25, v13, s[24:25]
	v_cmp_eq_u32_e64 s[26:27], 4, v24
	v_cndmask_b32_e64 v25, v25, v12, s[26:27]
	v_cmp_eq_u32_e64 s[28:29], 5, v24
	v_cndmask_b32_e64 v25, v25, v11, s[28:29]
	v_cmp_eq_u32_e64 s[30:31], 6, v24
	v_cndmask_b32_e64 v25, v25, v10, s[30:31]
	v_cmp_eq_u32_e64 s[34:35], 7, v24
	v_cndmask_b32_e64 v25, v25, v9, s[34:35]
	v_cmp_eq_u32_e64 s[36:37], 8, v24
	v_cndmask_b32_e64 v25, v25, v2, s[36:37]
	v_cmp_eq_u32_e64 s[38:39], 9, v24
	v_cndmask_b32_e64 v25, v25, v8, s[38:39]
	v_cmp_eq_u32_e64 s[40:41], 10, v24
	v_cndmask_b32_e64 v25, v25, v1, s[40:41]
	v_cmp_eq_u32_e64 s[42:43], 11, v24
	v_cndmask_b32_e64 v25, v25, v3, s[42:43]
	v_cmp_eq_u32_e64 s[44:45], 12, v24
	v_cndmask_b32_e64 v25, v25, v4, s[44:45]
	v_cmp_eq_u32_e64 s[46:47], 13, v24
	v_cndmask_b32_e64 v25, v25, v5, s[46:47]
	v_cmp_eq_u32_e64 s[48:49], 14, v24
	v_cndmask_b32_e64 v25, v25, v6, s[48:49]
	v_cmp_eq_u32_e64 s[50:51], 15, v24
	v_cndmask_b32_e64 v25, v25, v7, s[50:51]
	v_add_u16_e32 v25, 1, v25
	v_cndmask_b32_e64 v15, v15, v25, s[2:3]
	v_cmp_eq_u32_e64 s[2:3], 0, v24
	v_cndmask_b32_e64 v7, v7, v25, s[50:51]
	v_cndmask_b32_e64 v6, v6, v25, s[48:49]
	;; [unrolled: 1-line block ×15, first 2 shown]
.LBB0_12:
	s_or_b64 exec, exec, s[54:55]
	s_and_b64 s[2:3], vcc, s[52:53]
	s_and_b64 s[2:3], s[6:7], s[2:3]
	s_and_saveexec_b64 s[54:55], s[2:3]
	s_cbranch_execz .LBB0_14
; %bb.13:
	v_add_u32_e32 v24, v19, v18
	global_load_sbyte v24, v24, s[56:57]
	v_add_u16_e32 v17, 1, v17
	s_waitcnt vmcnt(0)
	v_cmp_eq_u32_e64 s[2:3], 1, v24
	v_cndmask_b32_e64 v25, v16, v15, s[2:3]
	v_cmp_eq_u32_e64 s[22:23], 2, v24
	v_cndmask_b32_e64 v25, v25, v14, s[22:23]
	v_cmp_eq_u32_e64 s[24:25], 3, v24
	v_cndmask_b32_e64 v25, v25, v13, s[24:25]
	v_cmp_eq_u32_e64 s[26:27], 4, v24
	v_cndmask_b32_e64 v25, v25, v12, s[26:27]
	v_cmp_eq_u32_e64 s[28:29], 5, v24
	v_cndmask_b32_e64 v25, v25, v11, s[28:29]
	v_cmp_eq_u32_e64 s[30:31], 6, v24
	v_cndmask_b32_e64 v25, v25, v10, s[30:31]
	v_cmp_eq_u32_e64 s[34:35], 7, v24
	v_cndmask_b32_e64 v25, v25, v9, s[34:35]
	v_cmp_eq_u32_e64 s[36:37], 8, v24
	v_cndmask_b32_e64 v25, v25, v2, s[36:37]
	v_cmp_eq_u32_e64 s[38:39], 9, v24
	v_cndmask_b32_e64 v25, v25, v8, s[38:39]
	v_cmp_eq_u32_e64 s[40:41], 10, v24
	v_cndmask_b32_e64 v25, v25, v1, s[40:41]
	v_cmp_eq_u32_e64 s[42:43], 11, v24
	v_cndmask_b32_e64 v25, v25, v3, s[42:43]
	v_cmp_eq_u32_e64 s[44:45], 12, v24
	v_cndmask_b32_e64 v25, v25, v4, s[44:45]
	v_cmp_eq_u32_e64 s[46:47], 13, v24
	v_cndmask_b32_e64 v25, v25, v5, s[46:47]
	v_cmp_eq_u32_e64 s[48:49], 14, v24
	v_cndmask_b32_e64 v25, v25, v6, s[48:49]
	v_cmp_eq_u32_e64 s[50:51], 15, v24
	v_cndmask_b32_e64 v25, v25, v7, s[50:51]
	v_add_u16_e32 v25, 1, v25
	v_cndmask_b32_e64 v15, v15, v25, s[2:3]
	v_cmp_eq_u32_e64 s[2:3], 0, v24
	v_cndmask_b32_e64 v7, v7, v25, s[50:51]
	v_cndmask_b32_e64 v6, v6, v25, s[48:49]
	v_cndmask_b32_e64 v5, v5, v25, s[46:47]
	v_cndmask_b32_e64 v4, v4, v25, s[44:45]
	v_cndmask_b32_e64 v3, v3, v25, s[42:43]
	v_cndmask_b32_e64 v1, v1, v25, s[40:41]
	v_cndmask_b32_e64 v8, v8, v25, s[38:39]
	v_cndmask_b32_e64 v2, v2, v25, s[36:37]
	v_cndmask_b32_e64 v9, v9, v25, s[34:35]
	v_cndmask_b32_e64 v10, v10, v25, s[30:31]
	v_cndmask_b32_e64 v11, v11, v25, s[28:29]
	v_cndmask_b32_e64 v12, v12, v25, s[26:27]
	v_cndmask_b32_e64 v13, v13, v25, s[24:25]
	v_cndmask_b32_e64 v14, v14, v25, s[22:23]
	v_cndmask_b32_e64 v16, v16, v25, s[2:3]
.LBB0_14:
	s_or_b64 exec, exec, s[54:55]
	s_and_b64 s[2:3], s[8:9], s[52:53]
	s_and_b64 s[2:3], s[0:1], s[2:3]
	s_and_saveexec_b64 s[54:55], s[2:3]
	s_cbranch_execz .LBB0_16
; %bb.15:
	v_add_u32_e32 v24, v0, v18
	global_load_sbyte v24, v24, s[56:57]
	v_add_u16_e32 v17, 1, v17
	s_waitcnt vmcnt(0)
	v_cmp_eq_u32_e64 s[2:3], 1, v24
	v_cndmask_b32_e64 v25, v16, v15, s[2:3]
	v_cmp_eq_u32_e64 s[22:23], 2, v24
	v_cndmask_b32_e64 v25, v25, v14, s[22:23]
	v_cmp_eq_u32_e64 s[24:25], 3, v24
	v_cndmask_b32_e64 v25, v25, v13, s[24:25]
	v_cmp_eq_u32_e64 s[26:27], 4, v24
	v_cndmask_b32_e64 v25, v25, v12, s[26:27]
	v_cmp_eq_u32_e64 s[28:29], 5, v24
	v_cndmask_b32_e64 v25, v25, v11, s[28:29]
	v_cmp_eq_u32_e64 s[30:31], 6, v24
	v_cndmask_b32_e64 v25, v25, v10, s[30:31]
	v_cmp_eq_u32_e64 s[34:35], 7, v24
	v_cndmask_b32_e64 v25, v25, v9, s[34:35]
	v_cmp_eq_u32_e64 s[36:37], 8, v24
	v_cndmask_b32_e64 v25, v25, v2, s[36:37]
	v_cmp_eq_u32_e64 s[38:39], 9, v24
	v_cndmask_b32_e64 v25, v25, v8, s[38:39]
	v_cmp_eq_u32_e64 s[40:41], 10, v24
	v_cndmask_b32_e64 v25, v25, v1, s[40:41]
	v_cmp_eq_u32_e64 s[42:43], 11, v24
	v_cndmask_b32_e64 v25, v25, v3, s[42:43]
	v_cmp_eq_u32_e64 s[44:45], 12, v24
	v_cndmask_b32_e64 v25, v25, v4, s[44:45]
	v_cmp_eq_u32_e64 s[46:47], 13, v24
	v_cndmask_b32_e64 v25, v25, v5, s[46:47]
	v_cmp_eq_u32_e64 s[48:49], 14, v24
	v_cndmask_b32_e64 v25, v25, v6, s[48:49]
	v_cmp_eq_u32_e64 s[50:51], 15, v24
	v_cndmask_b32_e64 v25, v25, v7, s[50:51]
	v_add_u16_e32 v25, 1, v25
	v_cndmask_b32_e64 v15, v15, v25, s[2:3]
	v_cmp_eq_u32_e64 s[2:3], 0, v24
	v_cndmask_b32_e64 v7, v7, v25, s[50:51]
	v_cndmask_b32_e64 v6, v6, v25, s[48:49]
	v_cndmask_b32_e64 v5, v5, v25, s[46:47]
	v_cndmask_b32_e64 v4, v4, v25, s[44:45]
	v_cndmask_b32_e64 v3, v3, v25, s[42:43]
	v_cndmask_b32_e64 v1, v1, v25, s[40:41]
	v_cndmask_b32_e64 v8, v8, v25, s[38:39]
	v_cndmask_b32_e64 v2, v2, v25, s[36:37]
	v_cndmask_b32_e64 v9, v9, v25, s[34:35]
	v_cndmask_b32_e64 v10, v10, v25, s[30:31]
	v_cndmask_b32_e64 v11, v11, v25, s[28:29]
	v_cndmask_b32_e64 v12, v12, v25, s[26:27]
	v_cndmask_b32_e64 v13, v13, v25, s[24:25]
	v_cndmask_b32_e64 v14, v14, v25, s[22:23]
	v_cndmask_b32_e64 v16, v16, v25, s[2:3]
.LBB0_16:
	s_or_b64 exec, exec, s[54:55]
	s_and_b64 s[2:3], s[10:11], s[52:53]
	;; [unrolled: 59-line block ×3, first 2 shown]
	s_and_b64 s[2:3], s[16:17], s[2:3]
	s_and_saveexec_b64 s[52:53], s[2:3]
	s_cbranch_execz .LBB0_20
; %bb.19:
	v_add_u32_e32 v18, v21, v18
	global_load_sbyte v18, v18, s[56:57]
	v_add_u16_e32 v17, 1, v17
	s_waitcnt vmcnt(0)
	v_cmp_eq_u32_e64 s[2:3], 1, v18
	v_cndmask_b32_e64 v24, v16, v15, s[2:3]
	v_cmp_eq_u32_e64 s[22:23], 2, v18
	v_cndmask_b32_e64 v24, v24, v14, s[22:23]
	v_cmp_eq_u32_e64 s[24:25], 3, v18
	v_cndmask_b32_e64 v24, v24, v13, s[24:25]
	v_cmp_eq_u32_e64 s[26:27], 4, v18
	v_cndmask_b32_e64 v24, v24, v12, s[26:27]
	v_cmp_eq_u32_e64 s[28:29], 5, v18
	v_cndmask_b32_e64 v24, v24, v11, s[28:29]
	v_cmp_eq_u32_e64 s[30:31], 6, v18
	v_cndmask_b32_e64 v24, v24, v10, s[30:31]
	v_cmp_eq_u32_e64 s[34:35], 7, v18
	v_cndmask_b32_e64 v24, v24, v9, s[34:35]
	v_cmp_eq_u32_e64 s[36:37], 8, v18
	v_cndmask_b32_e64 v24, v24, v2, s[36:37]
	v_cmp_eq_u32_e64 s[38:39], 9, v18
	v_cndmask_b32_e64 v24, v24, v8, s[38:39]
	v_cmp_eq_u32_e64 s[40:41], 10, v18
	v_cndmask_b32_e64 v24, v24, v1, s[40:41]
	v_cmp_eq_u32_e64 s[42:43], 11, v18
	v_cndmask_b32_e64 v24, v24, v3, s[42:43]
	v_cmp_eq_u32_e64 s[44:45], 12, v18
	v_cndmask_b32_e64 v24, v24, v4, s[44:45]
	v_cmp_eq_u32_e64 s[46:47], 13, v18
	v_cndmask_b32_e64 v24, v24, v5, s[46:47]
	v_cmp_eq_u32_e64 s[48:49], 14, v18
	v_cndmask_b32_e64 v24, v24, v6, s[48:49]
	v_cmp_eq_u32_e64 s[50:51], 15, v18
	v_cndmask_b32_e64 v24, v24, v7, s[50:51]
	v_add_u16_e32 v24, 1, v24
	v_cndmask_b32_e64 v15, v15, v24, s[2:3]
	v_cmp_eq_u32_e64 s[2:3], 0, v18
	v_cndmask_b32_e64 v7, v7, v24, s[50:51]
	v_cndmask_b32_e64 v6, v6, v24, s[48:49]
	;; [unrolled: 1-line block ×15, first 2 shown]
.LBB0_20:
	s_or_b64 exec, exec, s[52:53]
	v_cmp_lt_i32_e64 s[22:23], -1, v23
	v_cmp_gt_i32_e64 s[2:3], s58, v23
	v_mul_lo_u32 v18, v23, s59
	s_and_b64 s[54:55], s[22:23], s[2:3]
	s_and_b64 s[22:23], s[18:19], s[54:55]
	;; [unrolled: 1-line block ×3, first 2 shown]
	s_and_saveexec_b64 s[60:61], s[22:23]
	s_cbranch_execz .LBB0_22
; %bb.21:
	v_add_u32_e32 v24, v22, v18
	global_load_sbyte v24, v24, s[56:57]
	v_add_u16_e32 v17, 1, v17
	s_waitcnt vmcnt(0)
	v_cmp_eq_u32_e64 s[22:23], 1, v24
	v_cndmask_b32_e64 v25, v16, v15, s[22:23]
	v_cmp_eq_u32_e64 s[24:25], 2, v24
	v_cndmask_b32_e64 v25, v25, v14, s[24:25]
	;; [unrolled: 2-line block ×15, first 2 shown]
	v_add_u16_e32 v25, 1, v25
	v_cndmask_b32_e64 v15, v15, v25, s[22:23]
	v_cmp_eq_u32_e64 s[22:23], 0, v24
	v_cndmask_b32_e64 v7, v7, v25, s[52:53]
	v_cndmask_b32_e64 v6, v6, v25, s[50:51]
	;; [unrolled: 1-line block ×15, first 2 shown]
.LBB0_22:
	s_or_b64 exec, exec, s[60:61]
	s_and_b64 s[22:23], vcc, s[54:55]
	s_and_b64 s[22:23], s[6:7], s[22:23]
	s_and_saveexec_b64 s[60:61], s[22:23]
	s_cbranch_execz .LBB0_24
; %bb.23:
	v_add_u32_e32 v24, v19, v18
	global_load_sbyte v24, v24, s[56:57]
	v_add_u16_e32 v17, 1, v17
	s_waitcnt vmcnt(0)
	v_cmp_eq_u32_e64 s[22:23], 1, v24
	v_cndmask_b32_e64 v25, v16, v15, s[22:23]
	v_cmp_eq_u32_e64 s[24:25], 2, v24
	v_cndmask_b32_e64 v25, v25, v14, s[24:25]
	v_cmp_eq_u32_e64 s[26:27], 3, v24
	v_cndmask_b32_e64 v25, v25, v13, s[26:27]
	v_cmp_eq_u32_e64 s[28:29], 4, v24
	v_cndmask_b32_e64 v25, v25, v12, s[28:29]
	v_cmp_eq_u32_e64 s[30:31], 5, v24
	v_cndmask_b32_e64 v25, v25, v11, s[30:31]
	v_cmp_eq_u32_e64 s[34:35], 6, v24
	v_cndmask_b32_e64 v25, v25, v10, s[34:35]
	v_cmp_eq_u32_e64 s[36:37], 7, v24
	v_cndmask_b32_e64 v25, v25, v9, s[36:37]
	v_cmp_eq_u32_e64 s[38:39], 8, v24
	v_cndmask_b32_e64 v25, v25, v2, s[38:39]
	v_cmp_eq_u32_e64 s[40:41], 9, v24
	v_cndmask_b32_e64 v25, v25, v8, s[40:41]
	v_cmp_eq_u32_e64 s[42:43], 10, v24
	v_cndmask_b32_e64 v25, v25, v1, s[42:43]
	v_cmp_eq_u32_e64 s[44:45], 11, v24
	v_cndmask_b32_e64 v25, v25, v3, s[44:45]
	v_cmp_eq_u32_e64 s[46:47], 12, v24
	v_cndmask_b32_e64 v25, v25, v4, s[46:47]
	v_cmp_eq_u32_e64 s[48:49], 13, v24
	v_cndmask_b32_e64 v25, v25, v5, s[48:49]
	v_cmp_eq_u32_e64 s[50:51], 14, v24
	v_cndmask_b32_e64 v25, v25, v6, s[50:51]
	v_cmp_eq_u32_e64 s[52:53], 15, v24
	v_cndmask_b32_e64 v25, v25, v7, s[52:53]
	v_add_u16_e32 v25, 1, v25
	v_cndmask_b32_e64 v15, v15, v25, s[22:23]
	v_cmp_eq_u32_e64 s[22:23], 0, v24
	v_cndmask_b32_e64 v7, v7, v25, s[52:53]
	v_cndmask_b32_e64 v6, v6, v25, s[50:51]
	v_cndmask_b32_e64 v5, v5, v25, s[48:49]
	v_cndmask_b32_e64 v4, v4, v25, s[46:47]
	v_cndmask_b32_e64 v3, v3, v25, s[44:45]
	v_cndmask_b32_e64 v1, v1, v25, s[42:43]
	v_cndmask_b32_e64 v8, v8, v25, s[40:41]
	v_cndmask_b32_e64 v2, v2, v25, s[38:39]
	v_cndmask_b32_e64 v9, v9, v25, s[36:37]
	v_cndmask_b32_e64 v10, v10, v25, s[34:35]
	v_cndmask_b32_e64 v11, v11, v25, s[30:31]
	v_cndmask_b32_e64 v12, v12, v25, s[28:29]
	v_cndmask_b32_e64 v13, v13, v25, s[26:27]
	v_cndmask_b32_e64 v14, v14, v25, s[24:25]
	v_cndmask_b32_e64 v16, v16, v25, s[22:23]
.LBB0_24:
	s_or_b64 exec, exec, s[60:61]
	s_and_b64 s[22:23], s[8:9], s[54:55]
	s_and_b64 s[22:23], s[0:1], s[22:23]
	s_and_saveexec_b64 s[60:61], s[22:23]
	s_cbranch_execz .LBB0_26
; %bb.25:
	v_add_u32_e32 v24, v0, v18
	global_load_sbyte v24, v24, s[56:57]
	v_add_u16_e32 v17, 1, v17
	s_waitcnt vmcnt(0)
	v_cmp_eq_u32_e64 s[22:23], 1, v24
	v_cndmask_b32_e64 v25, v16, v15, s[22:23]
	v_cmp_eq_u32_e64 s[24:25], 2, v24
	v_cndmask_b32_e64 v25, v25, v14, s[24:25]
	v_cmp_eq_u32_e64 s[26:27], 3, v24
	v_cndmask_b32_e64 v25, v25, v13, s[26:27]
	v_cmp_eq_u32_e64 s[28:29], 4, v24
	v_cndmask_b32_e64 v25, v25, v12, s[28:29]
	v_cmp_eq_u32_e64 s[30:31], 5, v24
	v_cndmask_b32_e64 v25, v25, v11, s[30:31]
	v_cmp_eq_u32_e64 s[34:35], 6, v24
	v_cndmask_b32_e64 v25, v25, v10, s[34:35]
	v_cmp_eq_u32_e64 s[36:37], 7, v24
	v_cndmask_b32_e64 v25, v25, v9, s[36:37]
	v_cmp_eq_u32_e64 s[38:39], 8, v24
	v_cndmask_b32_e64 v25, v25, v2, s[38:39]
	v_cmp_eq_u32_e64 s[40:41], 9, v24
	v_cndmask_b32_e64 v25, v25, v8, s[40:41]
	v_cmp_eq_u32_e64 s[42:43], 10, v24
	v_cndmask_b32_e64 v25, v25, v1, s[42:43]
	v_cmp_eq_u32_e64 s[44:45], 11, v24
	v_cndmask_b32_e64 v25, v25, v3, s[44:45]
	v_cmp_eq_u32_e64 s[46:47], 12, v24
	v_cndmask_b32_e64 v25, v25, v4, s[46:47]
	v_cmp_eq_u32_e64 s[48:49], 13, v24
	v_cndmask_b32_e64 v25, v25, v5, s[48:49]
	v_cmp_eq_u32_e64 s[50:51], 14, v24
	v_cndmask_b32_e64 v25, v25, v6, s[50:51]
	v_cmp_eq_u32_e64 s[52:53], 15, v24
	v_cndmask_b32_e64 v25, v25, v7, s[52:53]
	v_add_u16_e32 v25, 1, v25
	v_cndmask_b32_e64 v15, v15, v25, s[22:23]
	v_cmp_eq_u32_e64 s[22:23], 0, v24
	v_cndmask_b32_e64 v7, v7, v25, s[52:53]
	v_cndmask_b32_e64 v6, v6, v25, s[50:51]
	v_cndmask_b32_e64 v5, v5, v25, s[48:49]
	v_cndmask_b32_e64 v4, v4, v25, s[46:47]
	v_cndmask_b32_e64 v3, v3, v25, s[44:45]
	v_cndmask_b32_e64 v1, v1, v25, s[42:43]
	v_cndmask_b32_e64 v8, v8, v25, s[40:41]
	v_cndmask_b32_e64 v2, v2, v25, s[38:39]
	v_cndmask_b32_e64 v9, v9, v25, s[36:37]
	v_cndmask_b32_e64 v10, v10, v25, s[34:35]
	v_cndmask_b32_e64 v11, v11, v25, s[30:31]
	v_cndmask_b32_e64 v12, v12, v25, s[28:29]
	v_cndmask_b32_e64 v13, v13, v25, s[26:27]
	v_cndmask_b32_e64 v14, v14, v25, s[24:25]
	v_cndmask_b32_e64 v16, v16, v25, s[22:23]
.LBB0_26:
	s_or_b64 exec, exec, s[60:61]
	s_and_b64 s[22:23], s[10:11], s[54:55]
	;; [unrolled: 59-line block ×3, first 2 shown]
	s_and_b64 s[22:23], s[16:17], s[22:23]
	s_and_saveexec_b64 s[54:55], s[22:23]
	s_cbranch_execz .LBB0_30
; %bb.29:
	v_add_u32_e32 v24, v21, v18
	global_load_sbyte v24, v24, s[56:57]
	v_add_u16_e32 v17, 1, v17
	s_waitcnt vmcnt(0)
	v_cmp_eq_u32_e64 s[22:23], 1, v24
	v_cndmask_b32_e64 v25, v16, v15, s[22:23]
	v_cmp_eq_u32_e64 s[24:25], 2, v24
	v_cndmask_b32_e64 v25, v25, v14, s[24:25]
	;; [unrolled: 2-line block ×15, first 2 shown]
	v_add_u16_e32 v25, 1, v25
	v_cndmask_b32_e64 v15, v15, v25, s[22:23]
	v_cmp_eq_u32_e64 s[22:23], 0, v24
	v_cndmask_b32_e64 v7, v7, v25, s[52:53]
	v_cndmask_b32_e64 v6, v6, v25, s[50:51]
	v_cndmask_b32_e64 v5, v5, v25, s[48:49]
	v_cndmask_b32_e64 v4, v4, v25, s[46:47]
	v_cndmask_b32_e64 v3, v3, v25, s[44:45]
	v_cndmask_b32_e64 v1, v1, v25, s[42:43]
	v_cndmask_b32_e64 v8, v8, v25, s[40:41]
	v_cndmask_b32_e64 v2, v2, v25, s[38:39]
	v_cndmask_b32_e64 v9, v9, v25, s[36:37]
	v_cndmask_b32_e64 v10, v10, v25, s[34:35]
	v_cndmask_b32_e64 v11, v11, v25, s[30:31]
	v_cndmask_b32_e64 v12, v12, v25, s[28:29]
	v_cndmask_b32_e64 v13, v13, v25, s[26:27]
	v_cndmask_b32_e64 v14, v14, v25, s[24:25]
	v_cndmask_b32_e64 v16, v16, v25, s[22:23]
.LBB0_30:
	s_or_b64 exec, exec, s[54:55]
	v_add_u32_e32 v24, 1, v23
	v_cmp_lt_i32_e64 s[22:23], -2, v23
	v_cmp_gt_i32_e64 s[24:25], s58, v24
	s_and_b64 s[54:55], s[22:23], s[24:25]
	s_and_b64 s[22:23], s[18:19], s[54:55]
	v_add_u32_e32 v24, s59, v18
	s_and_b64 s[22:23], s[20:21], s[22:23]
	s_and_saveexec_b64 s[60:61], s[22:23]
	s_cbranch_execz .LBB0_32
; %bb.31:
	v_add_u32_e32 v25, v22, v24
	global_load_sbyte v25, v25, s[56:57]
	v_add_u16_e32 v17, 1, v17
	s_waitcnt vmcnt(0)
	v_cmp_eq_u32_e64 s[22:23], 1, v25
	v_cndmask_b32_e64 v26, v16, v15, s[22:23]
	v_cmp_eq_u32_e64 s[24:25], 2, v25
	v_cndmask_b32_e64 v26, v26, v14, s[24:25]
	;; [unrolled: 2-line block ×15, first 2 shown]
	v_add_u16_e32 v26, 1, v26
	v_cndmask_b32_e64 v15, v15, v26, s[22:23]
	v_cmp_eq_u32_e64 s[22:23], 0, v25
	v_cndmask_b32_e64 v7, v7, v26, s[52:53]
	v_cndmask_b32_e64 v6, v6, v26, s[50:51]
	;; [unrolled: 1-line block ×15, first 2 shown]
.LBB0_32:
	s_or_b64 exec, exec, s[60:61]
	s_and_b64 s[22:23], vcc, s[54:55]
	s_and_b64 s[22:23], s[6:7], s[22:23]
	s_and_saveexec_b64 s[60:61], s[22:23]
	s_cbranch_execz .LBB0_34
; %bb.33:
	v_add_u32_e32 v25, v19, v24
	global_load_sbyte v25, v25, s[56:57]
	v_add_u16_e32 v17, 1, v17
	s_waitcnt vmcnt(0)
	v_cmp_eq_u32_e64 s[22:23], 1, v25
	v_cndmask_b32_e64 v26, v16, v15, s[22:23]
	v_cmp_eq_u32_e64 s[24:25], 2, v25
	v_cndmask_b32_e64 v26, v26, v14, s[24:25]
	v_cmp_eq_u32_e64 s[26:27], 3, v25
	v_cndmask_b32_e64 v26, v26, v13, s[26:27]
	v_cmp_eq_u32_e64 s[28:29], 4, v25
	v_cndmask_b32_e64 v26, v26, v12, s[28:29]
	v_cmp_eq_u32_e64 s[30:31], 5, v25
	v_cndmask_b32_e64 v26, v26, v11, s[30:31]
	v_cmp_eq_u32_e64 s[34:35], 6, v25
	v_cndmask_b32_e64 v26, v26, v10, s[34:35]
	v_cmp_eq_u32_e64 s[36:37], 7, v25
	v_cndmask_b32_e64 v26, v26, v9, s[36:37]
	v_cmp_eq_u32_e64 s[38:39], 8, v25
	v_cndmask_b32_e64 v26, v26, v2, s[38:39]
	v_cmp_eq_u32_e64 s[40:41], 9, v25
	v_cndmask_b32_e64 v26, v26, v8, s[40:41]
	v_cmp_eq_u32_e64 s[42:43], 10, v25
	v_cndmask_b32_e64 v26, v26, v1, s[42:43]
	v_cmp_eq_u32_e64 s[44:45], 11, v25
	v_cndmask_b32_e64 v26, v26, v3, s[44:45]
	v_cmp_eq_u32_e64 s[46:47], 12, v25
	v_cndmask_b32_e64 v26, v26, v4, s[46:47]
	v_cmp_eq_u32_e64 s[48:49], 13, v25
	v_cndmask_b32_e64 v26, v26, v5, s[48:49]
	v_cmp_eq_u32_e64 s[50:51], 14, v25
	v_cndmask_b32_e64 v26, v26, v6, s[50:51]
	v_cmp_eq_u32_e64 s[52:53], 15, v25
	v_cndmask_b32_e64 v26, v26, v7, s[52:53]
	v_add_u16_e32 v26, 1, v26
	v_cndmask_b32_e64 v15, v15, v26, s[22:23]
	v_cmp_eq_u32_e64 s[22:23], 0, v25
	v_cndmask_b32_e64 v7, v7, v26, s[52:53]
	v_cndmask_b32_e64 v6, v6, v26, s[50:51]
	v_cndmask_b32_e64 v5, v5, v26, s[48:49]
	v_cndmask_b32_e64 v4, v4, v26, s[46:47]
	v_cndmask_b32_e64 v3, v3, v26, s[44:45]
	v_cndmask_b32_e64 v1, v1, v26, s[42:43]
	v_cndmask_b32_e64 v8, v8, v26, s[40:41]
	v_cndmask_b32_e64 v2, v2, v26, s[38:39]
	v_cndmask_b32_e64 v9, v9, v26, s[36:37]
	v_cndmask_b32_e64 v10, v10, v26, s[34:35]
	v_cndmask_b32_e64 v11, v11, v26, s[30:31]
	v_cndmask_b32_e64 v12, v12, v26, s[28:29]
	v_cndmask_b32_e64 v13, v13, v26, s[26:27]
	v_cndmask_b32_e64 v14, v14, v26, s[24:25]
	v_cndmask_b32_e64 v16, v16, v26, s[22:23]
.LBB0_34:
	s_or_b64 exec, exec, s[60:61]
	s_and_b64 s[22:23], s[8:9], s[54:55]
	s_and_b64 s[22:23], s[0:1], s[22:23]
	s_and_saveexec_b64 s[60:61], s[22:23]
	s_cbranch_execz .LBB0_36
; %bb.35:
	v_add_u32_e32 v25, v0, v24
	global_load_sbyte v25, v25, s[56:57]
	v_add_u16_e32 v17, 1, v17
	s_waitcnt vmcnt(0)
	v_cmp_eq_u32_e64 s[22:23], 1, v25
	v_cndmask_b32_e64 v26, v16, v15, s[22:23]
	v_cmp_eq_u32_e64 s[24:25], 2, v25
	v_cndmask_b32_e64 v26, v26, v14, s[24:25]
	v_cmp_eq_u32_e64 s[26:27], 3, v25
	v_cndmask_b32_e64 v26, v26, v13, s[26:27]
	v_cmp_eq_u32_e64 s[28:29], 4, v25
	v_cndmask_b32_e64 v26, v26, v12, s[28:29]
	v_cmp_eq_u32_e64 s[30:31], 5, v25
	v_cndmask_b32_e64 v26, v26, v11, s[30:31]
	v_cmp_eq_u32_e64 s[34:35], 6, v25
	v_cndmask_b32_e64 v26, v26, v10, s[34:35]
	v_cmp_eq_u32_e64 s[36:37], 7, v25
	v_cndmask_b32_e64 v26, v26, v9, s[36:37]
	v_cmp_eq_u32_e64 s[38:39], 8, v25
	v_cndmask_b32_e64 v26, v26, v2, s[38:39]
	v_cmp_eq_u32_e64 s[40:41], 9, v25
	v_cndmask_b32_e64 v26, v26, v8, s[40:41]
	v_cmp_eq_u32_e64 s[42:43], 10, v25
	v_cndmask_b32_e64 v26, v26, v1, s[42:43]
	v_cmp_eq_u32_e64 s[44:45], 11, v25
	v_cndmask_b32_e64 v26, v26, v3, s[44:45]
	v_cmp_eq_u32_e64 s[46:47], 12, v25
	v_cndmask_b32_e64 v26, v26, v4, s[46:47]
	v_cmp_eq_u32_e64 s[48:49], 13, v25
	v_cndmask_b32_e64 v26, v26, v5, s[48:49]
	v_cmp_eq_u32_e64 s[50:51], 14, v25
	v_cndmask_b32_e64 v26, v26, v6, s[50:51]
	v_cmp_eq_u32_e64 s[52:53], 15, v25
	v_cndmask_b32_e64 v26, v26, v7, s[52:53]
	v_add_u16_e32 v26, 1, v26
	v_cndmask_b32_e64 v15, v15, v26, s[22:23]
	v_cmp_eq_u32_e64 s[22:23], 0, v25
	v_cndmask_b32_e64 v7, v7, v26, s[52:53]
	v_cndmask_b32_e64 v6, v6, v26, s[50:51]
	v_cndmask_b32_e64 v5, v5, v26, s[48:49]
	v_cndmask_b32_e64 v4, v4, v26, s[46:47]
	v_cndmask_b32_e64 v3, v3, v26, s[44:45]
	v_cndmask_b32_e64 v1, v1, v26, s[42:43]
	v_cndmask_b32_e64 v8, v8, v26, s[40:41]
	v_cndmask_b32_e64 v2, v2, v26, s[38:39]
	v_cndmask_b32_e64 v9, v9, v26, s[36:37]
	v_cndmask_b32_e64 v10, v10, v26, s[34:35]
	v_cndmask_b32_e64 v11, v11, v26, s[30:31]
	v_cndmask_b32_e64 v12, v12, v26, s[28:29]
	v_cndmask_b32_e64 v13, v13, v26, s[26:27]
	v_cndmask_b32_e64 v14, v14, v26, s[24:25]
	v_cndmask_b32_e64 v16, v16, v26, s[22:23]
.LBB0_36:
	s_or_b64 exec, exec, s[60:61]
	s_and_b64 s[22:23], s[10:11], s[54:55]
	;; [unrolled: 59-line block ×3, first 2 shown]
	s_and_b64 s[22:23], s[16:17], s[22:23]
	s_and_saveexec_b64 s[54:55], s[22:23]
	s_cbranch_execz .LBB0_40
; %bb.39:
	v_add_u32_e32 v25, v21, v24
	global_load_sbyte v25, v25, s[56:57]
	v_add_u16_e32 v17, 1, v17
	s_waitcnt vmcnt(0)
	v_cmp_eq_u32_e64 s[22:23], 1, v25
	v_cndmask_b32_e64 v26, v16, v15, s[22:23]
	v_cmp_eq_u32_e64 s[24:25], 2, v25
	v_cndmask_b32_e64 v26, v26, v14, s[24:25]
	;; [unrolled: 2-line block ×15, first 2 shown]
	v_add_u16_e32 v26, 1, v26
	v_cndmask_b32_e64 v15, v15, v26, s[22:23]
	v_cmp_eq_u32_e64 s[22:23], 0, v25
	v_cndmask_b32_e64 v7, v7, v26, s[52:53]
	v_cndmask_b32_e64 v6, v6, v26, s[50:51]
	;; [unrolled: 1-line block ×15, first 2 shown]
.LBB0_40:
	s_or_b64 exec, exec, s[54:55]
	v_add_u32_e32 v25, 2, v23
	v_cmp_lt_i32_e64 s[22:23], -3, v23
	v_cmp_gt_i32_e64 s[24:25], s58, v25
	s_and_b64 s[50:51], s[22:23], s[24:25]
	s_and_b64 s[18:19], s[18:19], s[50:51]
	v_add_u32_e32 v23, s59, v24
	s_and_b64 s[18:19], s[20:21], s[18:19]
	s_and_saveexec_b64 s[52:53], s[18:19]
	s_cbranch_execz .LBB0_42
; %bb.41:
	v_add_u32_e32 v22, v22, v23
	global_load_sbyte v22, v22, s[56:57]
	v_add_u16_e32 v17, 1, v17
	s_waitcnt vmcnt(0)
	v_cmp_eq_u32_e64 s[18:19], 1, v22
	v_cndmask_b32_e64 v24, v16, v15, s[18:19]
	v_cmp_eq_u32_e64 s[20:21], 2, v22
	v_cndmask_b32_e64 v24, v24, v14, s[20:21]
	;; [unrolled: 2-line block ×15, first 2 shown]
	v_add_u16_e32 v24, 1, v24
	v_cndmask_b32_e64 v15, v15, v24, s[18:19]
	v_cmp_eq_u32_e64 s[18:19], 0, v22
	v_cndmask_b32_e64 v7, v7, v24, s[48:49]
	v_cndmask_b32_e64 v6, v6, v24, s[46:47]
	;; [unrolled: 1-line block ×15, first 2 shown]
.LBB0_42:
	s_or_b64 exec, exec, s[52:53]
	s_and_b64 s[18:19], vcc, s[50:51]
	s_and_b64 s[6:7], s[6:7], s[18:19]
	s_and_saveexec_b64 s[46:47], s[6:7]
	s_cbranch_execz .LBB0_44
; %bb.43:
	v_add_u32_e32 v19, v19, v23
	global_load_sbyte v19, v19, s[56:57]
	v_add_u16_e32 v17, 1, v17
	s_waitcnt vmcnt(0)
	v_cmp_eq_u32_e32 vcc, 1, v19
	v_cndmask_b32_e32 v22, v16, v15, vcc
	v_cmp_eq_u32_e64 s[6:7], 2, v19
	v_cndmask_b32_e64 v22, v22, v14, s[6:7]
	v_cmp_eq_u32_e64 s[18:19], 3, v19
	v_cndmask_b32_e64 v22, v22, v13, s[18:19]
	v_cmp_eq_u32_e64 s[20:21], 4, v19
	v_cndmask_b32_e64 v22, v22, v12, s[20:21]
	v_cmp_eq_u32_e64 s[22:23], 5, v19
	v_cndmask_b32_e64 v22, v22, v11, s[22:23]
	v_cmp_eq_u32_e64 s[24:25], 6, v19
	v_cndmask_b32_e64 v22, v22, v10, s[24:25]
	v_cmp_eq_u32_e64 s[26:27], 7, v19
	v_cndmask_b32_e64 v22, v22, v9, s[26:27]
	v_cmp_eq_u32_e64 s[28:29], 8, v19
	v_cndmask_b32_e64 v22, v22, v2, s[28:29]
	v_cmp_eq_u32_e64 s[30:31], 9, v19
	v_cndmask_b32_e64 v22, v22, v8, s[30:31]
	v_cmp_eq_u32_e64 s[34:35], 10, v19
	v_cndmask_b32_e64 v22, v22, v1, s[34:35]
	v_cmp_eq_u32_e64 s[36:37], 11, v19
	v_cndmask_b32_e64 v22, v22, v3, s[36:37]
	v_cmp_eq_u32_e64 s[38:39], 12, v19
	v_cndmask_b32_e64 v22, v22, v4, s[38:39]
	v_cmp_eq_u32_e64 s[40:41], 13, v19
	v_cndmask_b32_e64 v22, v22, v5, s[40:41]
	v_cmp_eq_u32_e64 s[42:43], 14, v19
	v_cndmask_b32_e64 v22, v22, v6, s[42:43]
	v_cmp_eq_u32_e64 s[44:45], 15, v19
	v_cndmask_b32_e64 v22, v22, v7, s[44:45]
	v_add_u16_e32 v22, 1, v22
	v_cndmask_b32_e32 v15, v15, v22, vcc
	v_cmp_eq_u32_e32 vcc, 0, v19
	v_cndmask_b32_e64 v7, v7, v22, s[44:45]
	v_cndmask_b32_e64 v6, v6, v22, s[42:43]
	v_cndmask_b32_e64 v5, v5, v22, s[40:41]
	v_cndmask_b32_e64 v4, v4, v22, s[38:39]
	v_cndmask_b32_e64 v3, v3, v22, s[36:37]
	v_cndmask_b32_e64 v1, v1, v22, s[34:35]
	v_cndmask_b32_e64 v8, v8, v22, s[30:31]
	v_cndmask_b32_e64 v2, v2, v22, s[28:29]
	v_cndmask_b32_e64 v9, v9, v22, s[26:27]
	v_cndmask_b32_e64 v10, v10, v22, s[24:25]
	v_cndmask_b32_e64 v11, v11, v22, s[22:23]
	v_cndmask_b32_e64 v12, v12, v22, s[20:21]
	v_cndmask_b32_e64 v13, v13, v22, s[18:19]
	v_cndmask_b32_e64 v14, v14, v22, s[6:7]
	v_cndmask_b32_e32 v16, v16, v22, vcc
.LBB0_44:
	s_or_b64 exec, exec, s[46:47]
	s_and_b64 s[6:7], s[8:9], s[50:51]
	s_and_b64 s[6:7], s[0:1], s[6:7]
	s_and_saveexec_b64 s[44:45], s[6:7]
	s_cbranch_execz .LBB0_46
; %bb.45:
	v_add_u32_e32 v19, v0, v23
	global_load_sbyte v19, v19, s[56:57]
	v_add_u16_e32 v17, 1, v17
	s_waitcnt vmcnt(0)
	v_cmp_eq_u32_e32 vcc, 1, v19
	v_cndmask_b32_e32 v22, v16, v15, vcc
	v_cmp_eq_u32_e64 s[6:7], 2, v19
	v_cndmask_b32_e64 v22, v22, v14, s[6:7]
	v_cmp_eq_u32_e64 s[8:9], 3, v19
	v_cndmask_b32_e64 v22, v22, v13, s[8:9]
	v_cmp_eq_u32_e64 s[18:19], 4, v19
	v_cndmask_b32_e64 v22, v22, v12, s[18:19]
	v_cmp_eq_u32_e64 s[20:21], 5, v19
	v_cndmask_b32_e64 v22, v22, v11, s[20:21]
	v_cmp_eq_u32_e64 s[22:23], 6, v19
	v_cndmask_b32_e64 v22, v22, v10, s[22:23]
	v_cmp_eq_u32_e64 s[24:25], 7, v19
	v_cndmask_b32_e64 v22, v22, v9, s[24:25]
	v_cmp_eq_u32_e64 s[26:27], 8, v19
	v_cndmask_b32_e64 v22, v22, v2, s[26:27]
	v_cmp_eq_u32_e64 s[28:29], 9, v19
	v_cndmask_b32_e64 v22, v22, v8, s[28:29]
	v_cmp_eq_u32_e64 s[30:31], 10, v19
	v_cndmask_b32_e64 v22, v22, v1, s[30:31]
	v_cmp_eq_u32_e64 s[34:35], 11, v19
	v_cndmask_b32_e64 v22, v22, v3, s[34:35]
	v_cmp_eq_u32_e64 s[36:37], 12, v19
	v_cndmask_b32_e64 v22, v22, v4, s[36:37]
	v_cmp_eq_u32_e64 s[38:39], 13, v19
	v_cndmask_b32_e64 v22, v22, v5, s[38:39]
	v_cmp_eq_u32_e64 s[40:41], 14, v19
	v_cndmask_b32_e64 v22, v22, v6, s[40:41]
	v_cmp_eq_u32_e64 s[42:43], 15, v19
	v_cndmask_b32_e64 v22, v22, v7, s[42:43]
	v_add_u16_e32 v22, 1, v22
	v_cndmask_b32_e32 v15, v15, v22, vcc
	v_cmp_eq_u32_e32 vcc, 0, v19
	v_cndmask_b32_e64 v7, v7, v22, s[42:43]
	v_cndmask_b32_e64 v6, v6, v22, s[40:41]
	v_cndmask_b32_e64 v5, v5, v22, s[38:39]
	v_cndmask_b32_e64 v4, v4, v22, s[36:37]
	v_cndmask_b32_e64 v3, v3, v22, s[34:35]
	v_cndmask_b32_e64 v1, v1, v22, s[30:31]
	v_cndmask_b32_e64 v8, v8, v22, s[28:29]
	v_cndmask_b32_e64 v2, v2, v22, s[26:27]
	v_cndmask_b32_e64 v9, v9, v22, s[24:25]
	v_cndmask_b32_e64 v10, v10, v22, s[22:23]
	v_cndmask_b32_e64 v11, v11, v22, s[20:21]
	v_cndmask_b32_e64 v12, v12, v22, s[18:19]
	v_cndmask_b32_e64 v13, v13, v22, s[8:9]
	v_cndmask_b32_e64 v14, v14, v22, s[6:7]
	v_cndmask_b32_e32 v16, v16, v22, vcc
.LBB0_46:
	s_or_b64 exec, exec, s[44:45]
	s_and_b64 s[6:7], s[10:11], s[50:51]
	;; [unrolled: 59-line block ×3, first 2 shown]
	s_and_b64 s[6:7], s[16:17], s[6:7]
	s_and_saveexec_b64 s[36:37], s[6:7]
	s_cbranch_execz .LBB0_50
; %bb.49:
	v_add_u32_e32 v19, v21, v23
	global_load_sbyte v19, v19, s[56:57]
	v_add_u16_e32 v17, 1, v17
	s_waitcnt vmcnt(0)
	v_cmp_eq_u32_e32 vcc, 1, v19
	v_cndmask_b32_e32 v20, v16, v15, vcc
	v_cmp_eq_u32_e64 s[6:7], 2, v19
	v_cndmask_b32_e64 v20, v20, v14, s[6:7]
	v_cmp_eq_u32_e64 s[8:9], 3, v19
	v_cndmask_b32_e64 v20, v20, v13, s[8:9]
	;; [unrolled: 2-line block ×14, first 2 shown]
	v_add_u16_e32 v20, 1, v20
	v_cndmask_b32_e32 v15, v15, v20, vcc
	v_cmp_eq_u32_e32 vcc, 0, v19
	v_cndmask_b32_e64 v7, v7, v20, s[34:35]
	v_cndmask_b32_e64 v6, v6, v20, s[30:31]
	;; [unrolled: 1-line block ×14, first 2 shown]
	v_cndmask_b32_e32 v16, v16, v20, vcc
.LBB0_50:
	s_or_b64 exec, exec, s[36:37]
	v_mov_b32_e32 v19, 0
	v_cmp_ne_u16_sdwa s[6:7], v17, v19 src0_sel:BYTE_0 src1_sel:DWORD
	s_and_saveexec_b64 s[10:11], s[6:7]
	s_cbranch_execnz .LBB0_53
; %bb.51:
	s_or_b64 exec, exec, s[10:11]
	s_and_b64 s[0:1], s[0:1], s[2:3]
	s_and_saveexec_b64 s[2:3], s[0:1]
	s_cbranch_execnz .LBB0_54
.LBB0_52:
	s_endpgm
.LBB0_53:
	v_bfe_i32 v16, v16, 0, 8
	v_cvt_f32_i32_sdwa v19, sext(v16) dst_sel:DWORD dst_unused:UNUSED_PAD src0_sel:WORD_0
	v_bfe_i32 v15, v15, 0, 8
	v_cvt_f32_i32_sdwa v15, sext(v15) dst_sel:DWORD dst_unused:UNUSED_PAD src0_sel:WORD_0
	v_cvt_f32_ubyte0_e32 v16, v17
	v_div_scale_f32 v17, s[6:7], v16, v16, v19
	v_div_scale_f32 v20, s[6:7], v16, v16, v15
	v_div_scale_f32 v21, vcc, v19, v16, v19
	v_bfe_i32 v14, v14, 0, 8
	v_cvt_f32_i32_sdwa v26, sext(v14) dst_sel:DWORD dst_unused:UNUSED_PAD src0_sel:WORD_0
	s_mov_b32 s12, 0x800000
	v_bfe_i32 v13, v13, 0, 8
	v_cvt_f32_i32_sdwa v13, sext(v13) dst_sel:DWORD dst_unused:UNUSED_PAD src0_sel:WORD_0
	v_bfe_i32 v12, v12, 0, 8
	v_cvt_f32_i32_sdwa v12, sext(v12) dst_sel:DWORD dst_unused:UNUSED_PAD src0_sel:WORD_0
	;; [unrolled: 2-line block ×3, first 2 shown]
	v_bfe_i32 v10, v10, 0, 8
	v_rcp_f32_e32 v22, v17
	v_cvt_f32_i32_sdwa v10, sext(v10) dst_sel:DWORD dst_unused:UNUSED_PAD src0_sel:WORD_0
	v_rcp_f32_e32 v23, v20
	v_bfe_i32 v9, v9, 0, 8
	v_fma_f32 v24, -v17, v22, 1.0
	v_fmac_f32_e32 v22, v24, v22
	v_fma_f32 v25, -v20, v23, 1.0
	v_mul_f32_e32 v24, v21, v22
	v_fmac_f32_e32 v23, v25, v23
	v_fma_f32 v25, -v17, v24, v21
	v_fmac_f32_e32 v24, v25, v22
	v_div_scale_f32 v25, s[6:7], v15, v16, v15
	v_fma_f32 v14, -v17, v24, v21
	v_div_scale_f32 v17, s[8:9], v16, v16, v26
	v_div_fmas_f32 v14, v14, v22, v24
	s_mov_b64 vcc, s[6:7]
	v_cvt_f32_i32_sdwa v9, sext(v9) dst_sel:DWORD dst_unused:UNUSED_PAD src0_sel:WORD_0
	v_bfe_i32 v2, v2, 0, 8
	v_cvt_f32_i32_sdwa v2, sext(v2) dst_sel:DWORD dst_unused:UNUSED_PAD src0_sel:WORD_0
	v_bfe_i32 v8, v8, 0, 8
	;; [unrolled: 2-line block ×4, first 2 shown]
	v_cvt_f32_i32_sdwa v3, sext(v3) dst_sel:DWORD dst_unused:UNUSED_PAD src0_sel:WORD_0
	v_mul_f32_e32 v21, v25, v23
	v_fma_f32 v22, -v20, v21, v25
	v_fmac_f32_e32 v21, v22, v23
	v_div_scale_f32 v22, s[8:9], v26, v16, v26
	v_fma_f32 v20, -v20, v21, v25
	v_div_fmas_f32 v20, v20, v23, v21
	v_rcp_f32_e32 v24, v17
	s_mov_b64 vcc, s[8:9]
	v_div_fixup_f32 v19, v14, v16, v19
	v_bfe_i32 v4, v4, 0, 8
	v_fma_f32 v21, -v17, v24, 1.0
	v_fmac_f32_e32 v24, v21, v24
	v_bfe_i32 v5, v5, 0, 8
	v_bfe_i32 v6, v6, 0, 8
	v_cvt_f32_i32_sdwa v6, sext(v6) dst_sel:DWORD dst_unused:UNUSED_PAD src0_sel:WORD_0
	v_bfe_i32 v7, v7, 0, 8
	v_cvt_f32_i32_sdwa v7, sext(v7) dst_sel:DWORD dst_unused:UNUSED_PAD src0_sel:WORD_0
	v_mul_f32_e32 v21, v22, v24
	v_fma_f32 v23, -v17, v21, v22
	v_fmac_f32_e32 v21, v23, v24
	v_fma_f32 v17, -v17, v21, v22
	v_div_fmas_f32 v17, v17, v24, v21
	v_cmp_gt_f32_e32 vcc, s12, v19
	v_cndmask_b32_e64 v14, 0, 32, vcc
	v_ldexp_f32 v14, v19, v14
	v_log_f32_e32 v21, v14
	v_mov_b32_e32 v14, 0x42000000
	v_div_fixup_f32 v15, v20, v16, v15
	v_cndmask_b32_e32 v22, 0, v14, vcc
	v_cmp_gt_f32_e32 vcc, s12, v15
	v_cndmask_b32_e64 v20, 0, 32, vcc
	v_div_scale_f32 v23, s[6:7], v16, v16, v13
	v_ldexp_f32 v20, v15, v20
	v_log_f32_e32 v20, v20
	v_sub_f32_e32 v21, v21, v22
	v_fma_f32 v19, -v19, v21, 0
	v_cndmask_b32_e32 v21, 0, v14, vcc
	v_sub_f32_e32 v20, v20, v21
	v_div_scale_f32 v21, vcc, v13, v16, v13
	v_div_fixup_f32 v17, v17, v16, v26
	v_cmp_gt_f32_e64 s[6:7], s12, v17
	v_fma_f32 v15, -v15, v20, v19
	v_cndmask_b32_e64 v19, 0, 32, s[6:7]
	v_ldexp_f32 v19, v17, v19
	v_log_f32_e32 v19, v19
	v_rcp_f32_e32 v22, v23
	v_cndmask_b32_e64 v20, 0, v14, s[6:7]
	v_div_scale_f32 v24, s[6:7], v16, v16, v12
	v_sub_f32_e32 v19, v19, v20
	v_fma_f32 v20, -v23, v22, 1.0
	v_fmac_f32_e32 v22, v20, v22
	v_fma_f32 v15, -v17, v19, v15
	v_mul_f32_e32 v20, v21, v22
	v_fma_f32 v25, -v23, v20, v21
	v_fmac_f32_e32 v20, v25, v22
	v_div_scale_f32 v25, s[6:7], v12, v16, v12
	v_fma_f32 v21, -v23, v20, v21
	v_div_scale_f32 v23, s[8:9], v16, v16, v11
	v_div_fmas_f32 v20, v21, v22, v20
	v_div_scale_f32 v22, s[8:9], v11, v16, v11
	v_rcp_f32_e32 v21, v24
	s_mov_b64 vcc, s[6:7]
	v_fma_f32 v17, -v24, v21, 1.0
	v_fmac_f32_e32 v21, v17, v21
	v_mul_f32_e32 v17, v25, v21
	v_fma_f32 v19, -v24, v17, v25
	v_fmac_f32_e32 v17, v19, v21
	v_fma_f32 v19, -v24, v17, v25
	v_div_fmas_f32 v17, v19, v21, v17
	v_rcp_f32_e32 v24, v23
	v_div_fixup_f32 v13, v20, v16, v13
	v_cmp_gt_f32_e64 s[6:7], s12, v13
	v_cndmask_b32_e64 v21, 0, 32, s[6:7]
	v_fma_f32 v19, -v23, v24, 1.0
	v_fmac_f32_e32 v24, v19, v24
	v_mul_f32_e32 v19, v22, v24
	v_fma_f32 v20, -v23, v19, v22
	v_fmac_f32_e32 v19, v20, v24
	v_ldexp_f32 v21, v13, v21
	v_fma_f32 v20, -v23, v19, v22
	v_log_f32_e32 v21, v21
	v_div_scale_f32 v22, s[14:15], v16, v16, v10
	s_mov_b64 vcc, s[8:9]
	v_div_fmas_f32 v19, v20, v24, v19
	v_div_fixup_f32 v12, v17, v16, v12
	v_cndmask_b32_e64 v20, 0, v14, s[6:7]
	v_cmp_gt_f32_e64 s[6:7], s12, v12
	v_sub_f32_e32 v20, v21, v20
	v_cndmask_b32_e64 v21, 0, 32, s[6:7]
	v_ldexp_f32 v21, v12, v21
	v_div_scale_f32 v17, vcc, v10, v16, v10
	v_log_f32_e32 v21, v21
	v_fma_f32 v13, -v13, v20, v15
	v_cndmask_b32_e64 v15, 0, v14, s[6:7]
	v_sub_f32_e32 v15, v21, v15
	v_fma_f32 v12, -v12, v15, v13
	v_div_scale_f32 v13, s[6:7], v16, v16, v9
	v_rcp_f32_e32 v20, v22
	v_div_fixup_f32 v11, v19, v16, v11
	v_div_scale_f32 v19, s[6:7], v9, v16, v9
	v_fma_f32 v15, -v22, v20, 1.0
	v_fmac_f32_e32 v20, v15, v20
	v_mul_f32_e32 v15, v17, v20
	v_fma_f32 v21, -v22, v15, v17
	v_fmac_f32_e32 v15, v21, v20
	v_fma_f32 v17, -v22, v15, v17
	v_div_fmas_f32 v15, v17, v20, v15
	s_mov_b64 vcc, s[6:7]
	v_cmp_gt_f32_e64 s[8:9], s12, v11
	v_rcp_f32_e32 v21, v13
	v_fma_f32 v17, -v13, v21, 1.0
	v_fmac_f32_e32 v21, v17, v21
	v_mul_f32_e32 v17, v19, v21
	v_fma_f32 v20, -v13, v17, v19
	v_fmac_f32_e32 v17, v20, v21
	v_fma_f32 v13, -v13, v17, v19
	v_div_scale_f32 v19, s[14:15], v16, v16, v2
	v_div_fmas_f32 v13, v13, v21, v17
	v_div_fixup_f32 v10, v15, v16, v10
	v_div_scale_f32 v15, vcc, v2, v16, v2
	v_cndmask_b32_e64 v20, 0, 32, s[8:9]
	v_ldexp_f32 v20, v11, v20
	v_log_f32_e32 v17, v20
	v_cndmask_b32_e64 v20, 0, v14, s[8:9]
	v_cmp_gt_f32_e64 s[6:7], s12, v10
	v_cndmask_b32_e64 v21, 0, 32, s[6:7]
	v_sub_f32_e32 v17, v17, v20
	v_fma_f32 v11, -v11, v17, v12
	v_ldexp_f32 v21, v10, v21
	v_cndmask_b32_e64 v12, 0, v14, s[6:7]
	v_rcp_f32_e32 v17, v19
	v_log_f32_e32 v21, v21
	v_div_fixup_f32 v9, v13, v16, v9
	v_div_scale_f32 v13, s[6:7], v16, v16, v8
	v_fma_f32 v20, -v19, v17, 1.0
	v_fmac_f32_e32 v17, v20, v17
	v_mul_f32_e32 v20, v15, v17
	v_sub_f32_e32 v12, v21, v12
	v_fma_f32 v21, -v19, v20, v15
	v_fmac_f32_e32 v20, v21, v17
	v_div_scale_f32 v21, s[6:7], v8, v16, v8
	v_cmp_gt_f32_e64 s[8:9], s12, v9
	v_fma_f32 v15, -v19, v20, v15
	v_cndmask_b32_e64 v19, 0, 32, s[8:9]
	v_ldexp_f32 v19, v9, v19
	v_div_fmas_f32 v15, v15, v17, v20
	v_log_f32_e32 v19, v19
	v_rcp_f32_e32 v17, v13
	v_fma_f32 v10, -v10, v12, v11
	v_cndmask_b32_e64 v11, 0, v14, s[8:9]
	v_sub_f32_e32 v11, v19, v11
	v_fma_f32 v12, -v13, v17, 1.0
	v_div_scale_f32 v19, s[8:9], v16, v16, v1
	v_fmac_f32_e32 v17, v12, v17
	v_mul_f32_e32 v12, v21, v17
	v_fma_f32 v20, -v13, v12, v21
	v_fmac_f32_e32 v12, v20, v17
	v_fma_f32 v13, -v13, v12, v21
	s_mov_b64 vcc, s[6:7]
	v_div_fmas_f32 v12, v13, v17, v12
	v_fma_f32 v9, -v9, v11, v10
	v_div_scale_f32 v10, vcc, v1, v16, v1
	v_div_fixup_f32 v2, v15, v16, v2
	v_cmp_gt_f32_e64 s[6:7], s12, v2
	v_cndmask_b32_e64 v11, 0, 32, s[6:7]
	v_ldexp_f32 v11, v2, v11
	v_log_f32_e32 v11, v11
	v_cndmask_b32_e64 v13, 0, v14, s[6:7]
	v_rcp_f32_e32 v15, v19
	v_div_scale_f32 v17, s[6:7], v16, v16, v3
	v_sub_f32_e32 v11, v11, v13
	v_fma_f32 v9, -v2, v11, v9
	v_fma_f32 v2, -v19, v15, 1.0
	v_fmac_f32_e32 v15, v2, v15
	v_div_scale_f32 v11, s[6:7], v3, v16, v3
	v_mul_f32_e32 v2, v10, v15
	v_div_fixup_f32 v8, v12, v16, v8
	v_fma_f32 v12, -v19, v2, v10
	v_fmac_f32_e32 v2, v12, v15
	v_fma_f32 v10, -v19, v2, v10
	v_div_fmas_f32 v2, v10, v15, v2
	v_cmp_gt_f32_e32 vcc, s12, v8
	v_cndmask_b32_e64 v10, 0, 32, vcc
	v_rcp_f32_e32 v12, v17
	v_cndmask_b32_e32 v13, 0, v14, vcc
	s_mov_b64 vcc, s[6:7]
	v_ldexp_f32 v10, v8, v10
	v_fma_f32 v15, -v17, v12, 1.0
	v_fmac_f32_e32 v12, v15, v12
	v_mul_f32_e32 v15, v11, v12
	v_fma_f32 v19, -v17, v15, v11
	v_fmac_f32_e32 v15, v19, v12
	v_fma_f32 v11, -v17, v15, v11
	v_div_fmas_f32 v11, v11, v12, v15
	v_log_f32_e32 v10, v10
	v_div_fixup_f32 v12, v2, v16, v1
	v_cvt_f32_i32_sdwa v2, sext(v4) dst_sel:DWORD dst_unused:UNUSED_PAD src0_sel:WORD_0
	v_cmp_gt_f32_e32 vcc, s12, v12
	v_cndmask_b32_e64 v1, 0, 32, vcc
	v_ldexp_f32 v1, v12, v1
	v_log_f32_e32 v1, v1
	v_div_scale_f32 v4, s[6:7], v16, v16, v2
	v_sub_f32_e32 v10, v10, v13
	v_fma_f32 v8, -v8, v10, v9
	v_cndmask_b32_e32 v9, 0, v14, vcc
	v_sub_f32_e32 v9, v1, v9
	v_cvt_f32_i32_sdwa v1, sext(v5) dst_sel:DWORD dst_unused:UNUSED_PAD src0_sel:WORD_0
	v_div_scale_f32 v5, vcc, v2, v16, v2
	v_div_fixup_f32 v3, v11, v16, v3
	v_div_scale_f32 v10, s[6:7], v16, v16, v1
	v_cmp_gt_f32_e64 s[6:7], s12, v3
	v_cndmask_b32_e64 v11, 0, 32, s[6:7]
	v_div_scale_f32 v13, s[8:9], v1, v16, v1
	v_ldexp_f32 v11, v3, v11
	v_log_f32_e32 v11, v11
	v_rcp_f32_e32 v15, v4
	v_fma_f32 v8, -v12, v9, v8
	v_cndmask_b32_e64 v9, 0, v14, s[6:7]
	v_sub_f32_e32 v9, v11, v9
	v_fma_f32 v11, -v4, v15, 1.0
	v_fmac_f32_e32 v15, v11, v15
	v_mul_f32_e32 v11, v5, v15
	v_fma_f32 v12, -v4, v11, v5
	v_fmac_f32_e32 v11, v12, v15
	v_rcp_f32_e32 v12, v10
	v_fma_f32 v4, -v4, v11, v5
	v_div_fmas_f32 v4, v4, v15, v11
	s_mov_b64 vcc, s[8:9]
	v_fma_f32 v5, -v10, v12, 1.0
	v_fmac_f32_e32 v12, v5, v12
	v_mul_f32_e32 v5, v13, v12
	v_fma_f32 v11, -v10, v5, v13
	v_fmac_f32_e32 v5, v11, v12
	v_div_scale_f32 v11, s[6:7], v16, v16, v6
	v_fma_f32 v10, -v10, v5, v13
	v_div_fmas_f32 v5, v10, v12, v5
	v_div_scale_f32 v10, vcc, v6, v16, v6
	v_fma_f32 v3, -v3, v9, v8
	v_div_scale_f32 v8, s[6:7], v16, v16, v7
	v_div_scale_f32 v9, s[8:9], v7, v16, v7
	v_div_fixup_f32 v2, v4, v16, v2
	v_cmp_gt_f32_e64 s[6:7], s12, v2
	v_cndmask_b32_e64 v4, 0, 32, s[6:7]
	v_ldexp_f32 v4, v2, v4
	v_log_f32_e32 v4, v4
	v_rcp_f32_e32 v12, v11
	v_cndmask_b32_e64 v13, 0, v14, s[6:7]
	v_div_fixup_f32 v1, v5, v16, v1
	v_fma_f32 v5, -v11, v12, 1.0
	v_fmac_f32_e32 v12, v5, v12
	v_mul_f32_e32 v5, v10, v12
	v_fma_f32 v15, -v11, v5, v10
	v_fmac_f32_e32 v5, v15, v12
	v_rcp_f32_e32 v15, v8
	v_fma_f32 v10, -v11, v5, v10
	v_div_fmas_f32 v5, v10, v12, v5
	s_mov_b64 vcc, s[8:9]
	v_fma_f32 v10, -v8, v15, 1.0
	v_fmac_f32_e32 v15, v10, v15
	v_mul_f32_e32 v10, v9, v15
	v_fma_f32 v11, -v8, v10, v9
	v_fmac_f32_e32 v10, v11, v15
	v_fma_f32 v8, -v8, v10, v9
	v_div_fmas_f32 v8, v8, v15, v10
	v_cmp_gt_f32_e32 vcc, s12, v1
	v_cndmask_b32_e64 v9, 0, 32, vcc
	v_ldexp_f32 v9, v1, v9
	v_log_f32_e32 v9, v9
	v_sub_f32_e32 v4, v4, v13
	v_fma_f32 v2, -v2, v4, v3
	v_cndmask_b32_e32 v3, 0, v14, vcc
	v_sub_f32_e32 v3, v9, v3
	v_fma_f32 v1, -v1, v3, v2
	v_div_fixup_f32 v2, v5, v16, v6
	v_cmp_gt_f32_e32 vcc, s12, v2
	v_cndmask_b32_e64 v3, 0, 32, vcc
	v_ldexp_f32 v3, v2, v3
	v_cndmask_b32_e32 v4, 0, v14, vcc
	v_log_f32_e32 v3, v3
	v_div_fixup_f32 v5, v8, v16, v7
	v_cmp_gt_f32_e32 vcc, s12, v5
	v_cndmask_b32_e64 v6, 0, 32, vcc
	v_ldexp_f32 v6, v5, v6
	v_log_f32_e32 v6, v6
	v_sub_f32_e32 v3, v3, v4
	v_fma_f32 v1, -v2, v3, v1
	v_cndmask_b32_e32 v2, 0, v14, vcc
	v_sub_f32_e32 v2, v6, v2
	v_fma_f32 v19, -v5, v2, v1
	s_or_b64 exec, exec, s[10:11]
	s_and_b64 s[0:1], s[0:1], s[2:3]
	s_and_saveexec_b64 s[2:3], s[0:1]
	s_cbranch_execz .LBB0_52
.LBB0_54:
	s_load_dwordx2 s[0:1], s[4:5], 0x0
	v_add_u32_e32 v0, v18, v0
	v_ashrrev_i32_e32 v1, 31, v0
	v_lshlrev_b64 v[0:1], 2, v[0:1]
	s_waitcnt lgkmcnt(0)
	v_mov_b32_e32 v2, s1
	v_add_co_u32_e32 v0, vcc, s0, v0
	v_addc_co_u32_e32 v1, vcc, v2, v1, vcc
	global_store_dword v[0:1], v19, off
	s_endpgm
	.section	.rodata,"a",@progbits
	.p2align	6, 0x0
	.amdhsa_kernel _Z7entropyPfPKcii
		.amdhsa_group_segment_fixed_size 0
		.amdhsa_private_segment_fixed_size 0
		.amdhsa_kernarg_size 280
		.amdhsa_user_sgpr_count 6
		.amdhsa_user_sgpr_private_segment_buffer 1
		.amdhsa_user_sgpr_dispatch_ptr 0
		.amdhsa_user_sgpr_queue_ptr 0
		.amdhsa_user_sgpr_kernarg_segment_ptr 1
		.amdhsa_user_sgpr_dispatch_id 0
		.amdhsa_user_sgpr_flat_scratch_init 0
		.amdhsa_user_sgpr_private_segment_size 0
		.amdhsa_uses_dynamic_stack 0
		.amdhsa_system_sgpr_private_segment_wavefront_offset 0
		.amdhsa_system_sgpr_workgroup_id_x 1
		.amdhsa_system_sgpr_workgroup_id_y 1
		.amdhsa_system_sgpr_workgroup_id_z 0
		.amdhsa_system_sgpr_workgroup_info 0
		.amdhsa_system_vgpr_workitem_id 1
		.amdhsa_next_free_vgpr 27
		.amdhsa_next_free_sgpr 62
		.amdhsa_reserve_vcc 1
		.amdhsa_reserve_flat_scratch 0
		.amdhsa_float_round_mode_32 0
		.amdhsa_float_round_mode_16_64 0
		.amdhsa_float_denorm_mode_32 3
		.amdhsa_float_denorm_mode_16_64 3
		.amdhsa_dx10_clamp 1
		.amdhsa_ieee_mode 1
		.amdhsa_fp16_overflow 0
		.amdhsa_exception_fp_ieee_invalid_op 0
		.amdhsa_exception_fp_denorm_src 0
		.amdhsa_exception_fp_ieee_div_zero 0
		.amdhsa_exception_fp_ieee_overflow 0
		.amdhsa_exception_fp_ieee_underflow 0
		.amdhsa_exception_fp_ieee_inexact 0
		.amdhsa_exception_int_div_zero 0
	.end_amdhsa_kernel
	.text
.Lfunc_end0:
	.size	_Z7entropyPfPKcii, .Lfunc_end0-_Z7entropyPfPKcii
                                        ; -- End function
	.set _Z7entropyPfPKcii.num_vgpr, 27
	.set _Z7entropyPfPKcii.num_agpr, 0
	.set _Z7entropyPfPKcii.numbered_sgpr, 62
	.set _Z7entropyPfPKcii.num_named_barrier, 0
	.set _Z7entropyPfPKcii.private_seg_size, 0
	.set _Z7entropyPfPKcii.uses_vcc, 1
	.set _Z7entropyPfPKcii.uses_flat_scratch, 0
	.set _Z7entropyPfPKcii.has_dyn_sized_stack, 0
	.set _Z7entropyPfPKcii.has_recursion, 0
	.set _Z7entropyPfPKcii.has_indirect_call, 0
	.section	.AMDGPU.csdata,"",@progbits
; Kernel info:
; codeLenInByte = 12860
; TotalNumSgprs: 66
; NumVgprs: 27
; ScratchSize: 0
; MemoryBound: 0
; FloatMode: 240
; IeeeMode: 1
; LDSByteSize: 0 bytes/workgroup (compile time only)
; SGPRBlocks: 8
; VGPRBlocks: 6
; NumSGPRsForWavesPerEU: 66
; NumVGPRsForWavesPerEU: 27
; Occupancy: 9
; WaveLimiterHint : 0
; COMPUTE_PGM_RSRC2:SCRATCH_EN: 0
; COMPUTE_PGM_RSRC2:USER_SGPR: 6
; COMPUTE_PGM_RSRC2:TRAP_HANDLER: 0
; COMPUTE_PGM_RSRC2:TGID_X_EN: 1
; COMPUTE_PGM_RSRC2:TGID_Y_EN: 1
; COMPUTE_PGM_RSRC2:TGID_Z_EN: 0
; COMPUTE_PGM_RSRC2:TIDIG_COMP_CNT: 1
	.section	.text._Z11entropy_optILi16ELi16EEvPfPKcPKfii,"axG",@progbits,_Z11entropy_optILi16ELi16EEvPfPKcPKfii,comdat
	.protected	_Z11entropy_optILi16ELi16EEvPfPKcPKfii ; -- Begin function _Z11entropy_optILi16ELi16EEvPfPKcPKfii
	.globl	_Z11entropy_optILi16ELi16EEvPfPKcPKfii
	.p2align	8
	.type	_Z11entropy_optILi16ELi16EEvPfPKcPKfii,@function
_Z11entropy_optILi16ELi16EEvPfPKcPKfii: ; @_Z11entropy_optILi16ELi16EEvPfPKcPKfii
; %bb.0:
	s_load_dword s0, s[4:5], 0x2c
	s_load_dwordx2 s[26:27], s[4:5], 0x8
	s_load_dwordx2 s[28:29], s[4:5], 0x18
	v_lshlrev_b32_e32 v2, 2, v0
	v_lshl_add_u32 v3, v1, 6, v2
	s_waitcnt lgkmcnt(0)
	s_lshr_b32 s1, s0, 16
	s_mul_i32 s7, s7, s1
	s_and_b32 s0, s0, 0xffff
	v_add_u32_e32 v6, s7, v1
	s_mul_i32 s6, s6, s0
	v_add_u32_e32 v1, -2, v6
	v_add_u32_e32 v0, s6, v0
	v_cmp_lt_i32_e32 vcc, 1, v6
	v_cmp_gt_i32_e64 s[0:1], s28, v1
	v_mul_lo_u32 v1, v1, s29
	s_and_b64 s[18:19], vcc, s[0:1]
	v_add_u32_e32 v4, -2, v0
	v_cmp_lt_i32_e64 s[0:1], 1, v0
	s_and_b64 s[6:7], s[0:1], s[18:19]
	v_cmp_gt_i32_e64 s[2:3], s29, v4
	v_mov_b32_e32 v2, 0
	s_and_b64 s[8:9], s[2:3], s[6:7]
	ds_write2st64_b32 v3, v2, v2 offset1:4
	ds_write2st64_b32 v3, v2, v2 offset0:8 offset1:12
	ds_write2st64_b32 v3, v2, v2 offset0:16 offset1:20
	;; [unrolled: 1-line block ×7, first 2 shown]
	s_and_saveexec_b64 s[6:7], s[8:9]
	s_cbranch_execz .LBB1_2
; %bb.1:
	v_add_u32_e32 v2, v4, v1
	global_load_sbyte v2, v2, s[26:27]
	s_waitcnt vmcnt(0)
	v_lshl_add_u32 v2, v2, 10, v3
	ds_read_b32 v5, v2
	s_waitcnt lgkmcnt(0)
	v_add_u32_e32 v5, 1, v5
	ds_write_b32 v2, v5
	v_mov_b32_e32 v2, 1
.LBB1_2:
	s_or_b64 exec, exec, s[6:7]
	v_cmp_lt_i32_e64 s[6:7], 0, v0
	s_and_b64 s[10:11], s[6:7], s[18:19]
	v_cmp_ge_i32_e64 s[8:9], s29, v0
	v_add_u32_e32 v5, -1, v0
	s_and_b64 s[12:13], s[8:9], s[10:11]
	s_and_saveexec_b64 s[10:11], s[12:13]
	s_cbranch_execz .LBB1_4
; %bb.3:
	v_add_u32_e32 v7, v5, v1
	global_load_sbyte v7, v7, s[26:27]
	v_add_u16_e32 v2, 1, v2
	s_waitcnt vmcnt(0)
	v_lshl_add_u32 v7, v7, 10, v3
	ds_read_b32 v8, v7
	s_waitcnt lgkmcnt(0)
	v_add_u32_e32 v8, 1, v8
	ds_write_b32 v7, v8
.LBB1_4:
	s_or_b64 exec, exec, s[10:11]
	v_cmp_lt_i32_e64 s[10:11], -1, v0
	s_and_b64 s[12:13], s[10:11], s[18:19]
	v_cmp_gt_i32_e32 vcc, s29, v0
	s_and_b64 s[14:15], vcc, s[12:13]
	s_and_saveexec_b64 s[12:13], s[14:15]
	s_cbranch_execz .LBB1_6
; %bb.5:
	v_add_u32_e32 v7, v0, v1
	global_load_sbyte v7, v7, s[26:27]
	v_add_u16_e32 v2, 1, v2
	s_waitcnt vmcnt(0)
	v_lshl_add_u32 v7, v7, 10, v3
	ds_read_b32 v8, v7
	s_waitcnt lgkmcnt(0)
	v_add_u32_e32 v8, 1, v8
	ds_write_b32 v7, v8
.LBB1_6:
	s_or_b64 exec, exec, s[12:13]
	v_add_u32_e32 v7, 1, v0
	v_cmp_lt_i32_e64 s[12:13], -2, v0
	s_and_b64 s[16:17], s[12:13], s[18:19]
	v_cmp_gt_i32_e64 s[14:15], s29, v7
	s_and_b64 s[20:21], s[14:15], s[16:17]
	s_and_saveexec_b64 s[16:17], s[20:21]
	s_cbranch_execz .LBB1_8
; %bb.7:
	v_add_u32_e32 v8, v7, v1
	global_load_sbyte v8, v8, s[26:27]
	v_add_u16_e32 v2, 1, v2
	s_waitcnt vmcnt(0)
	v_lshl_add_u32 v8, v8, 10, v3
	ds_read_b32 v9, v8
	s_waitcnt lgkmcnt(0)
	v_add_u32_e32 v9, 1, v9
	ds_write_b32 v8, v9
.LBB1_8:
	s_or_b64 exec, exec, s[16:17]
	v_add_u32_e32 v8, 2, v0
	v_cmp_lt_i32_e64 s[16:17], -3, v0
	s_and_b64 s[20:21], s[16:17], s[18:19]
	v_cmp_gt_i32_e64 s[18:19], s29, v8
	s_and_b64 s[22:23], s[18:19], s[20:21]
	s_and_saveexec_b64 s[20:21], s[22:23]
	s_cbranch_execz .LBB1_10
; %bb.9:
	v_add_u32_e32 v1, v8, v1
	global_load_sbyte v1, v1, s[26:27]
	v_add_u16_e32 v2, 1, v2
	s_waitcnt vmcnt(0)
	v_lshl_add_u32 v1, v1, 10, v3
	ds_read_b32 v9, v1
	s_waitcnt lgkmcnt(0)
	v_add_u32_e32 v9, 1, v9
	ds_write_b32 v1, v9
.LBB1_10:
	s_or_b64 exec, exec, s[20:21]
	v_add_u32_e32 v1, -1, v6
	v_cmp_lt_i32_e64 s[20:21], 0, v6
	v_cmp_ge_i32_e64 s[22:23], s28, v6
	v_mul_lo_u32 v1, v1, s29
	s_and_b64 s[20:21], s[20:21], s[22:23]
	s_and_b64 s[22:23], s[0:1], s[20:21]
	;; [unrolled: 1-line block ×3, first 2 shown]
	s_and_saveexec_b64 s[22:23], s[24:25]
	s_cbranch_execz .LBB1_12
; %bb.11:
	v_add_u32_e32 v9, v4, v1
	global_load_sbyte v9, v9, s[26:27]
	v_add_u16_e32 v2, 1, v2
	s_waitcnt vmcnt(0)
	v_lshl_add_u32 v9, v9, 10, v3
	ds_read_b32 v10, v9
	s_waitcnt lgkmcnt(0)
	v_add_u32_e32 v10, 1, v10
	ds_write_b32 v9, v10
.LBB1_12:
	s_or_b64 exec, exec, s[22:23]
	s_and_b64 s[22:23], s[6:7], s[20:21]
	s_and_b64 s[24:25], s[8:9], s[22:23]
	s_and_saveexec_b64 s[22:23], s[24:25]
	s_cbranch_execz .LBB1_14
; %bb.13:
	v_add_u32_e32 v9, v5, v1
	global_load_sbyte v9, v9, s[26:27]
	v_add_u16_e32 v2, 1, v2
	s_waitcnt vmcnt(0)
	v_lshl_add_u32 v9, v9, 10, v3
	ds_read_b32 v10, v9
	s_waitcnt lgkmcnt(0)
	v_add_u32_e32 v10, 1, v10
	ds_write_b32 v9, v10
.LBB1_14:
	s_or_b64 exec, exec, s[22:23]
	s_and_b64 s[22:23], s[10:11], s[20:21]
	s_and_b64 s[24:25], vcc, s[22:23]
	s_and_saveexec_b64 s[22:23], s[24:25]
	s_cbranch_execz .LBB1_16
; %bb.15:
	v_add_u32_e32 v9, v0, v1
	global_load_sbyte v9, v9, s[26:27]
	v_add_u16_e32 v2, 1, v2
	s_waitcnt vmcnt(0)
	v_lshl_add_u32 v9, v9, 10, v3
	ds_read_b32 v10, v9
	s_waitcnt lgkmcnt(0)
	v_add_u32_e32 v10, 1, v10
	ds_write_b32 v9, v10
.LBB1_16:
	s_or_b64 exec, exec, s[22:23]
	s_and_b64 s[22:23], s[12:13], s[20:21]
	s_and_b64 s[24:25], s[14:15], s[22:23]
	s_and_saveexec_b64 s[22:23], s[24:25]
	s_cbranch_execz .LBB1_18
; %bb.17:
	v_add_u32_e32 v9, v7, v1
	global_load_sbyte v9, v9, s[26:27]
	v_add_u16_e32 v2, 1, v2
	s_waitcnt vmcnt(0)
	v_lshl_add_u32 v9, v9, 10, v3
	ds_read_b32 v10, v9
	s_waitcnt lgkmcnt(0)
	v_add_u32_e32 v10, 1, v10
	ds_write_b32 v9, v10
.LBB1_18:
	s_or_b64 exec, exec, s[22:23]
	s_and_b64 s[20:21], s[16:17], s[20:21]
	s_and_b64 s[22:23], s[18:19], s[20:21]
	s_and_saveexec_b64 s[20:21], s[22:23]
	s_cbranch_execz .LBB1_20
; %bb.19:
	v_add_u32_e32 v1, v8, v1
	global_load_sbyte v1, v1, s[26:27]
	v_add_u16_e32 v2, 1, v2
	s_waitcnt vmcnt(0)
	v_lshl_add_u32 v1, v1, 10, v3
	ds_read_b32 v9, v1
	s_waitcnt lgkmcnt(0)
	v_add_u32_e32 v9, 1, v9
	ds_write_b32 v1, v9
.LBB1_20:
	s_or_b64 exec, exec, s[20:21]
	v_cmp_lt_i32_e64 s[22:23], -1, v6
	v_cmp_gt_i32_e64 s[20:21], s28, v6
	v_mul_lo_u32 v1, v6, s29
	s_and_b64 s[22:23], s[22:23], s[20:21]
	s_and_b64 s[24:25], s[0:1], s[22:23]
	;; [unrolled: 1-line block ×3, first 2 shown]
	s_and_saveexec_b64 s[24:25], s[30:31]
	s_cbranch_execz .LBB1_22
; %bb.21:
	v_add_u32_e32 v9, v4, v1
	global_load_sbyte v9, v9, s[26:27]
	v_add_u16_e32 v2, 1, v2
	s_waitcnt vmcnt(0)
	v_lshl_add_u32 v9, v9, 10, v3
	ds_read_b32 v10, v9
	s_waitcnt lgkmcnt(0)
	v_add_u32_e32 v10, 1, v10
	ds_write_b32 v9, v10
.LBB1_22:
	s_or_b64 exec, exec, s[24:25]
	s_and_b64 s[24:25], s[6:7], s[22:23]
	s_and_b64 s[30:31], s[8:9], s[24:25]
	s_and_saveexec_b64 s[24:25], s[30:31]
	s_cbranch_execz .LBB1_24
; %bb.23:
	v_add_u32_e32 v9, v5, v1
	global_load_sbyte v9, v9, s[26:27]
	v_add_u16_e32 v2, 1, v2
	s_waitcnt vmcnt(0)
	v_lshl_add_u32 v9, v9, 10, v3
	ds_read_b32 v10, v9
	s_waitcnt lgkmcnt(0)
	v_add_u32_e32 v10, 1, v10
	ds_write_b32 v9, v10
.LBB1_24:
	s_or_b64 exec, exec, s[24:25]
	s_and_b64 s[24:25], s[10:11], s[22:23]
	s_and_b64 s[30:31], vcc, s[24:25]
	s_and_saveexec_b64 s[24:25], s[30:31]
	s_cbranch_execz .LBB1_26
; %bb.25:
	v_add_u32_e32 v9, v0, v1
	global_load_sbyte v9, v9, s[26:27]
	v_add_u16_e32 v2, 1, v2
	s_waitcnt vmcnt(0)
	v_lshl_add_u32 v9, v9, 10, v3
	ds_read_b32 v10, v9
	s_waitcnt lgkmcnt(0)
	v_add_u32_e32 v10, 1, v10
	ds_write_b32 v9, v10
.LBB1_26:
	s_or_b64 exec, exec, s[24:25]
	s_and_b64 s[24:25], s[12:13], s[22:23]
	s_and_b64 s[30:31], s[14:15], s[24:25]
	s_and_saveexec_b64 s[24:25], s[30:31]
	s_cbranch_execz .LBB1_28
; %bb.27:
	v_add_u32_e32 v9, v7, v1
	global_load_sbyte v9, v9, s[26:27]
	v_add_u16_e32 v2, 1, v2
	s_waitcnt vmcnt(0)
	v_lshl_add_u32 v9, v9, 10, v3
	ds_read_b32 v10, v9
	s_waitcnt lgkmcnt(0)
	v_add_u32_e32 v10, 1, v10
	ds_write_b32 v9, v10
.LBB1_28:
	s_or_b64 exec, exec, s[24:25]
	s_and_b64 s[22:23], s[16:17], s[22:23]
	s_and_b64 s[24:25], s[18:19], s[22:23]
	s_and_saveexec_b64 s[22:23], s[24:25]
	s_cbranch_execz .LBB1_30
; %bb.29:
	v_add_u32_e32 v9, v8, v1
	global_load_sbyte v9, v9, s[26:27]
	v_add_u16_e32 v2, 1, v2
	s_waitcnt vmcnt(0)
	v_lshl_add_u32 v9, v9, 10, v3
	ds_read_b32 v10, v9
	s_waitcnt lgkmcnt(0)
	v_add_u32_e32 v10, 1, v10
	ds_write_b32 v9, v10
.LBB1_30:
	s_or_b64 exec, exec, s[22:23]
	v_add_u32_e32 v9, 1, v6
	v_cmp_lt_i32_e64 s[22:23], -2, v6
	v_cmp_gt_i32_e64 s[24:25], s28, v9
	s_and_b64 s[22:23], s[22:23], s[24:25]
	s_and_b64 s[24:25], s[0:1], s[22:23]
	v_add_u32_e32 v9, s29, v1
	s_and_b64 s[30:31], s[2:3], s[24:25]
	s_and_saveexec_b64 s[24:25], s[30:31]
	s_cbranch_execz .LBB1_32
; %bb.31:
	v_add_u32_e32 v10, v4, v9
	global_load_sbyte v10, v10, s[26:27]
	v_add_u16_e32 v2, 1, v2
	s_waitcnt vmcnt(0)
	v_lshl_add_u32 v10, v10, 10, v3
	ds_read_b32 v11, v10
	s_waitcnt lgkmcnt(0)
	v_add_u32_e32 v11, 1, v11
	ds_write_b32 v10, v11
.LBB1_32:
	s_or_b64 exec, exec, s[24:25]
	s_and_b64 s[24:25], s[6:7], s[22:23]
	s_and_b64 s[30:31], s[8:9], s[24:25]
	s_and_saveexec_b64 s[24:25], s[30:31]
	s_cbranch_execz .LBB1_34
; %bb.33:
	v_add_u32_e32 v10, v5, v9
	global_load_sbyte v10, v10, s[26:27]
	v_add_u16_e32 v2, 1, v2
	s_waitcnt vmcnt(0)
	v_lshl_add_u32 v10, v10, 10, v3
	ds_read_b32 v11, v10
	s_waitcnt lgkmcnt(0)
	v_add_u32_e32 v11, 1, v11
	ds_write_b32 v10, v11
.LBB1_34:
	s_or_b64 exec, exec, s[24:25]
	s_and_b64 s[24:25], s[10:11], s[22:23]
	s_and_b64 s[30:31], vcc, s[24:25]
	s_and_saveexec_b64 s[24:25], s[30:31]
	s_cbranch_execz .LBB1_36
; %bb.35:
	v_add_u32_e32 v10, v0, v9
	global_load_sbyte v10, v10, s[26:27]
	v_add_u16_e32 v2, 1, v2
	s_waitcnt vmcnt(0)
	v_lshl_add_u32 v10, v10, 10, v3
	ds_read_b32 v11, v10
	s_waitcnt lgkmcnt(0)
	v_add_u32_e32 v11, 1, v11
	ds_write_b32 v10, v11
.LBB1_36:
	s_or_b64 exec, exec, s[24:25]
	s_and_b64 s[24:25], s[12:13], s[22:23]
	s_and_b64 s[30:31], s[14:15], s[24:25]
	s_and_saveexec_b64 s[24:25], s[30:31]
	s_cbranch_execz .LBB1_38
; %bb.37:
	v_add_u32_e32 v10, v7, v9
	global_load_sbyte v10, v10, s[26:27]
	v_add_u16_e32 v2, 1, v2
	s_waitcnt vmcnt(0)
	v_lshl_add_u32 v10, v10, 10, v3
	ds_read_b32 v11, v10
	s_waitcnt lgkmcnt(0)
	v_add_u32_e32 v11, 1, v11
	ds_write_b32 v10, v11
.LBB1_38:
	s_or_b64 exec, exec, s[24:25]
	s_and_b64 s[22:23], s[16:17], s[22:23]
	s_and_b64 s[24:25], s[18:19], s[22:23]
	s_and_saveexec_b64 s[22:23], s[24:25]
	s_cbranch_execz .LBB1_40
; %bb.39:
	v_add_u32_e32 v10, v8, v9
	global_load_sbyte v10, v10, s[26:27]
	v_add_u16_e32 v2, 1, v2
	s_waitcnt vmcnt(0)
	v_lshl_add_u32 v10, v10, 10, v3
	ds_read_b32 v11, v10
	s_waitcnt lgkmcnt(0)
	v_add_u32_e32 v11, 1, v11
	ds_write_b32 v10, v11
.LBB1_40:
	s_or_b64 exec, exec, s[22:23]
	v_add_u32_e32 v10, 2, v6
	v_cmp_lt_i32_e64 s[22:23], -3, v6
	v_cmp_gt_i32_e64 s[24:25], s28, v10
	s_and_b64 s[22:23], s[22:23], s[24:25]
	s_and_b64 s[0:1], s[0:1], s[22:23]
	v_add_u32_e32 v6, s29, v9
	s_and_b64 s[2:3], s[2:3], s[0:1]
	s_and_saveexec_b64 s[0:1], s[2:3]
	s_cbranch_execz .LBB1_42
; %bb.41:
	v_add_u32_e32 v4, v4, v6
	global_load_sbyte v4, v4, s[26:27]
	v_add_u16_e32 v2, 1, v2
	s_waitcnt vmcnt(0)
	v_lshl_add_u32 v4, v4, 10, v3
	ds_read_b32 v9, v4
	s_waitcnt lgkmcnt(0)
	v_add_u32_e32 v9, 1, v9
	ds_write_b32 v4, v9
.LBB1_42:
	s_or_b64 exec, exec, s[0:1]
	s_and_b64 s[0:1], s[6:7], s[22:23]
	s_and_b64 s[2:3], s[8:9], s[0:1]
	s_and_saveexec_b64 s[0:1], s[2:3]
	s_cbranch_execz .LBB1_44
; %bb.43:
	v_add_u32_e32 v4, v5, v6
	global_load_sbyte v4, v4, s[26:27]
	v_add_u16_e32 v2, 1, v2
	s_waitcnt vmcnt(0)
	v_lshl_add_u32 v4, v4, 10, v3
	ds_read_b32 v5, v4
	s_waitcnt lgkmcnt(0)
	v_add_u32_e32 v5, 1, v5
	ds_write_b32 v4, v5
.LBB1_44:
	s_or_b64 exec, exec, s[0:1]
	s_and_b64 s[0:1], s[10:11], s[22:23]
	s_and_b64 s[2:3], vcc, s[0:1]
	s_and_saveexec_b64 s[0:1], s[2:3]
	s_cbranch_execz .LBB1_46
; %bb.45:
	v_add_u32_e32 v4, v0, v6
	global_load_sbyte v4, v4, s[26:27]
	v_add_u16_e32 v2, 1, v2
	s_waitcnt vmcnt(0)
	v_lshl_add_u32 v4, v4, 10, v3
	ds_read_b32 v5, v4
	s_waitcnt lgkmcnt(0)
	v_add_u32_e32 v5, 1, v5
	ds_write_b32 v4, v5
.LBB1_46:
	s_or_b64 exec, exec, s[0:1]
	s_and_b64 s[0:1], s[12:13], s[22:23]
	s_and_b64 s[2:3], s[14:15], s[0:1]
	s_and_saveexec_b64 s[0:1], s[2:3]
	s_cbranch_execz .LBB1_48
; %bb.47:
	v_add_u32_e32 v4, v7, v6
	global_load_sbyte v4, v4, s[26:27]
	v_add_u16_e32 v2, 1, v2
	s_waitcnt vmcnt(0)
	v_lshl_add_u32 v4, v4, 10, v3
	ds_read_b32 v5, v4
	s_waitcnt lgkmcnt(0)
	v_add_u32_e32 v5, 1, v5
	ds_write_b32 v4, v5
.LBB1_48:
	s_or_b64 exec, exec, s[0:1]
	s_and_b64 s[0:1], s[16:17], s[22:23]
	s_and_b64 s[2:3], s[18:19], s[0:1]
	s_and_saveexec_b64 s[0:1], s[2:3]
	s_cbranch_execnz .LBB1_51
; %bb.49:
	s_or_b64 exec, exec, s[0:1]
	s_and_b64 s[0:1], vcc, s[20:21]
	s_and_saveexec_b64 s[2:3], s[0:1]
	s_cbranch_execnz .LBB1_52
.LBB1_50:
	s_endpgm
.LBB1_51:
	v_add_u32_e32 v4, v8, v6
	global_load_sbyte v4, v4, s[26:27]
	v_add_u16_e32 v2, 1, v2
	s_waitcnt vmcnt(0)
	v_lshl_add_u32 v4, v4, 10, v3
	ds_read_b32 v5, v4
	s_waitcnt lgkmcnt(0)
	v_add_u32_e32 v5, 1, v5
	ds_write_b32 v4, v5
	s_or_b64 exec, exec, s[0:1]
	s_and_b64 s[0:1], vcc, s[20:21]
	s_and_saveexec_b64 s[2:3], s[0:1]
	s_cbranch_execz .LBB1_50
.LBB1_52:
	s_load_dwordx2 s[0:1], s[4:5], 0x0
	s_load_dwordx2 s[2:3], s[4:5], 0x10
	ds_read2st64_b32 v[4:5], v3 offset1:4
	v_add_u32_e32 v0, v1, v0
	v_ashrrev_i32_e32 v1, 31, v0
	v_lshlrev_b64 v[0:1], 2, v[0:1]
	v_cvt_f32_ubyte0_e32 v2, v2
	s_waitcnt lgkmcnt(0)
	v_ashrrev_i32_e32 v7, 31, v4
	v_mov_b32_e32 v6, v4
	v_lshlrev_b64 v[6:7], 2, v[6:7]
	v_mov_b32_e32 v4, s3
	v_add_co_u32_e32 v6, vcc, s2, v6
	v_addc_co_u32_e32 v7, vcc, v4, v7, vcc
	global_load_dword v7, v[6:7], off
	v_ashrrev_i32_e32 v6, 31, v5
	v_lshlrev_b64 v[4:5], 2, v[5:6]
	v_mov_b32_e32 v6, s3
	v_add_co_u32_e32 v4, vcc, s2, v4
	v_addc_co_u32_e32 v5, vcc, v6, v5, vcc
	global_load_dword v4, v[4:5], off
	s_waitcnt vmcnt(0)
	v_sub_f32_e64 v8, -v7, v4
	ds_read2st64_b32 v[4:5], v3 offset0:8 offset1:12
	s_waitcnt lgkmcnt(0)
	v_ashrrev_i32_e32 v7, 31, v4
	v_mov_b32_e32 v6, v4
	v_lshlrev_b64 v[6:7], 2, v[6:7]
	v_mov_b32_e32 v4, s3
	v_add_co_u32_e32 v6, vcc, s2, v6
	v_addc_co_u32_e32 v7, vcc, v4, v7, vcc
	global_load_dword v4, v[6:7], off
	v_ashrrev_i32_e32 v6, 31, v5
	s_waitcnt vmcnt(0)
	v_sub_f32_e32 v7, v8, v4
	v_lshlrev_b64 v[4:5], 2, v[5:6]
	v_mov_b32_e32 v6, s3
	v_add_co_u32_e32 v4, vcc, s2, v4
	v_addc_co_u32_e32 v5, vcc, v6, v5, vcc
	global_load_dword v4, v[4:5], off
	s_waitcnt vmcnt(0)
	v_sub_f32_e32 v8, v7, v4
	ds_read2st64_b32 v[4:5], v3 offset0:16 offset1:20
	s_waitcnt lgkmcnt(0)
	v_ashrrev_i32_e32 v7, 31, v4
	v_mov_b32_e32 v6, v4
	v_lshlrev_b64 v[6:7], 2, v[6:7]
	v_mov_b32_e32 v4, s3
	v_add_co_u32_e32 v6, vcc, s2, v6
	v_addc_co_u32_e32 v7, vcc, v4, v7, vcc
	global_load_dword v4, v[6:7], off
	v_ashrrev_i32_e32 v6, 31, v5
	s_waitcnt vmcnt(0)
	v_sub_f32_e32 v7, v8, v4
	v_lshlrev_b64 v[4:5], 2, v[5:6]
	v_mov_b32_e32 v6, s3
	v_add_co_u32_e32 v4, vcc, s2, v4
	v_addc_co_u32_e32 v5, vcc, v6, v5, vcc
	global_load_dword v4, v[4:5], off
	s_waitcnt vmcnt(0)
	v_sub_f32_e32 v8, v7, v4
	ds_read2st64_b32 v[4:5], v3 offset0:24 offset1:28
	s_waitcnt lgkmcnt(0)
	v_ashrrev_i32_e32 v7, 31, v4
	v_mov_b32_e32 v6, v4
	v_lshlrev_b64 v[6:7], 2, v[6:7]
	v_mov_b32_e32 v4, s3
	v_add_co_u32_e32 v6, vcc, s2, v6
	v_addc_co_u32_e32 v7, vcc, v4, v7, vcc
	global_load_dword v4, v[6:7], off
	v_ashrrev_i32_e32 v6, 31, v5
	s_waitcnt vmcnt(0)
	v_sub_f32_e32 v7, v8, v4
	v_lshlrev_b64 v[4:5], 2, v[5:6]
	v_mov_b32_e32 v6, s3
	v_add_co_u32_e32 v4, vcc, s2, v4
	v_addc_co_u32_e32 v5, vcc, v6, v5, vcc
	global_load_dword v4, v[4:5], off
	s_waitcnt vmcnt(0)
	v_sub_f32_e32 v8, v7, v4
	ds_read2st64_b32 v[4:5], v3 offset0:32 offset1:36
	s_waitcnt lgkmcnt(0)
	v_ashrrev_i32_e32 v7, 31, v4
	v_mov_b32_e32 v6, v4
	v_lshlrev_b64 v[6:7], 2, v[6:7]
	v_mov_b32_e32 v4, s3
	v_add_co_u32_e32 v6, vcc, s2, v6
	v_addc_co_u32_e32 v7, vcc, v4, v7, vcc
	global_load_dword v4, v[6:7], off
	v_ashrrev_i32_e32 v6, 31, v5
	s_waitcnt vmcnt(0)
	v_sub_f32_e32 v7, v8, v4
	v_lshlrev_b64 v[4:5], 2, v[5:6]
	v_mov_b32_e32 v6, s3
	v_add_co_u32_e32 v4, vcc, s2, v4
	v_addc_co_u32_e32 v5, vcc, v6, v5, vcc
	global_load_dword v4, v[4:5], off
	s_waitcnt vmcnt(0)
	v_sub_f32_e32 v8, v7, v4
	ds_read2st64_b32 v[4:5], v3 offset0:40 offset1:44
	s_waitcnt lgkmcnt(0)
	v_ashrrev_i32_e32 v7, 31, v4
	v_mov_b32_e32 v6, v4
	v_lshlrev_b64 v[6:7], 2, v[6:7]
	v_mov_b32_e32 v4, s3
	v_add_co_u32_e32 v6, vcc, s2, v6
	v_addc_co_u32_e32 v7, vcc, v4, v7, vcc
	global_load_dword v4, v[6:7], off
	v_ashrrev_i32_e32 v6, 31, v5
	s_waitcnt vmcnt(0)
	v_sub_f32_e32 v7, v8, v4
	v_lshlrev_b64 v[4:5], 2, v[5:6]
	v_mov_b32_e32 v6, s3
	v_add_co_u32_e32 v4, vcc, s2, v4
	v_addc_co_u32_e32 v5, vcc, v6, v5, vcc
	global_load_dword v4, v[4:5], off
	s_waitcnt vmcnt(0)
	v_sub_f32_e32 v8, v7, v4
	ds_read2st64_b32 v[4:5], v3 offset0:48 offset1:52
	s_waitcnt lgkmcnt(0)
	v_ashrrev_i32_e32 v7, 31, v4
	v_mov_b32_e32 v6, v4
	v_lshlrev_b64 v[6:7], 2, v[6:7]
	v_mov_b32_e32 v4, s3
	v_add_co_u32_e32 v6, vcc, s2, v6
	v_addc_co_u32_e32 v7, vcc, v4, v7, vcc
	global_load_dword v4, v[6:7], off
	v_ashrrev_i32_e32 v6, 31, v5
	s_waitcnt vmcnt(0)
	v_sub_f32_e32 v7, v8, v4
	v_lshlrev_b64 v[4:5], 2, v[5:6]
	v_mov_b32_e32 v6, s3
	v_add_co_u32_e32 v4, vcc, s2, v4
	v_addc_co_u32_e32 v5, vcc, v6, v5, vcc
	global_load_dword v4, v[4:5], off
	s_waitcnt vmcnt(0)
	v_sub_f32_e32 v7, v7, v4
	ds_read2st64_b32 v[3:4], v3 offset0:56 offset1:60
	s_waitcnt lgkmcnt(0)
	v_ashrrev_i32_e32 v6, 31, v3
	v_mov_b32_e32 v5, v3
	v_lshlrev_b64 v[5:6], 2, v[5:6]
	v_mov_b32_e32 v3, s3
	v_add_co_u32_e32 v5, vcc, s2, v5
	v_addc_co_u32_e32 v6, vcc, v3, v6, vcc
	global_load_dword v3, v[5:6], off
	v_ashrrev_i32_e32 v5, 31, v4
	s_waitcnt vmcnt(0)
	v_sub_f32_e32 v6, v7, v3
	v_lshlrev_b64 v[3:4], 2, v[4:5]
	v_mov_b32_e32 v5, s3
	v_add_co_u32_e32 v3, vcc, s2, v3
	v_addc_co_u32_e32 v4, vcc, v5, v4, vcc
	global_load_dword v3, v[3:4], off
	v_add_co_u32_e32 v0, vcc, s0, v0
	v_mov_b32_e32 v4, s1
	v_addc_co_u32_e32 v1, vcc, v4, v1, vcc
	s_waitcnt vmcnt(0)
	v_sub_f32_e32 v3, v6, v3
	v_div_scale_f32 v4, s[0:1], v2, v2, v3
	s_mov_b32 s0, 0x800000
	v_rcp_f32_e32 v5, v4
	v_fma_f32 v6, -v4, v5, 1.0
	v_fmac_f32_e32 v5, v6, v5
	v_div_scale_f32 v6, vcc, v3, v2, v3
	v_mul_f32_e32 v7, v6, v5
	v_fma_f32 v8, -v4, v7, v6
	v_fmac_f32_e32 v7, v8, v5
	v_fma_f32 v4, -v4, v7, v6
	v_div_fmas_f32 v4, v4, v5, v7
	v_cmp_gt_f32_e32 vcc, s0, v2
	v_cndmask_b32_e64 v5, 0, 32, vcc
	v_div_fixup_f32 v3, v4, v2, v3
	v_ldexp_f32 v2, v2, v5
	v_log_f32_e32 v2, v2
	v_mov_b32_e32 v4, 0x42000000
	v_cndmask_b32_e32 v4, 0, v4, vcc
	v_sub_f32_e32 v2, v2, v4
	v_add_f32_e32 v2, v2, v3
	global_store_dword v[0:1], v2, off
	s_endpgm
	.section	.rodata,"a",@progbits
	.p2align	6, 0x0
	.amdhsa_kernel _Z11entropy_optILi16ELi16EEvPfPKcPKfii
		.amdhsa_group_segment_fixed_size 16384
		.amdhsa_private_segment_fixed_size 0
		.amdhsa_kernarg_size 288
		.amdhsa_user_sgpr_count 6
		.amdhsa_user_sgpr_private_segment_buffer 1
		.amdhsa_user_sgpr_dispatch_ptr 0
		.amdhsa_user_sgpr_queue_ptr 0
		.amdhsa_user_sgpr_kernarg_segment_ptr 1
		.amdhsa_user_sgpr_dispatch_id 0
		.amdhsa_user_sgpr_flat_scratch_init 0
		.amdhsa_user_sgpr_private_segment_size 0
		.amdhsa_uses_dynamic_stack 0
		.amdhsa_system_sgpr_private_segment_wavefront_offset 0
		.amdhsa_system_sgpr_workgroup_id_x 1
		.amdhsa_system_sgpr_workgroup_id_y 1
		.amdhsa_system_sgpr_workgroup_id_z 0
		.amdhsa_system_sgpr_workgroup_info 0
		.amdhsa_system_vgpr_workitem_id 1
		.amdhsa_next_free_vgpr 29
		.amdhsa_next_free_sgpr 61
		.amdhsa_reserve_vcc 1
		.amdhsa_reserve_flat_scratch 0
		.amdhsa_float_round_mode_32 0
		.amdhsa_float_round_mode_16_64 0
		.amdhsa_float_denorm_mode_32 3
		.amdhsa_float_denorm_mode_16_64 3
		.amdhsa_dx10_clamp 1
		.amdhsa_ieee_mode 1
		.amdhsa_fp16_overflow 0
		.amdhsa_exception_fp_ieee_invalid_op 0
		.amdhsa_exception_fp_denorm_src 0
		.amdhsa_exception_fp_ieee_div_zero 0
		.amdhsa_exception_fp_ieee_overflow 0
		.amdhsa_exception_fp_ieee_underflow 0
		.amdhsa_exception_fp_ieee_inexact 0
		.amdhsa_exception_int_div_zero 0
	.end_amdhsa_kernel
	.section	.text._Z11entropy_optILi16ELi16EEvPfPKcPKfii,"axG",@progbits,_Z11entropy_optILi16ELi16EEvPfPKcPKfii,comdat
.Lfunc_end1:
	.size	_Z11entropy_optILi16ELi16EEvPfPKcPKfii, .Lfunc_end1-_Z11entropy_optILi16ELi16EEvPfPKcPKfii
                                        ; -- End function
	.set _Z11entropy_optILi16ELi16EEvPfPKcPKfii.num_vgpr, 12
	.set _Z11entropy_optILi16ELi16EEvPfPKcPKfii.num_agpr, 0
	.set _Z11entropy_optILi16ELi16EEvPfPKcPKfii.numbered_sgpr, 32
	.set _Z11entropy_optILi16ELi16EEvPfPKcPKfii.num_named_barrier, 0
	.set _Z11entropy_optILi16ELi16EEvPfPKcPKfii.private_seg_size, 0
	.set _Z11entropy_optILi16ELi16EEvPfPKcPKfii.uses_vcc, 1
	.set _Z11entropy_optILi16ELi16EEvPfPKcPKfii.uses_flat_scratch, 0
	.set _Z11entropy_optILi16ELi16EEvPfPKcPKfii.has_dyn_sized_stack, 0
	.set _Z11entropy_optILi16ELi16EEvPfPKcPKfii.has_recursion, 0
	.set _Z11entropy_optILi16ELi16EEvPfPKcPKfii.has_indirect_call, 0
	.section	.AMDGPU.csdata,"",@progbits
; Kernel info:
; codeLenInByte = 3152
; TotalNumSgprs: 36
; NumVgprs: 12
; ScratchSize: 0
; MemoryBound: 0
; FloatMode: 240
; IeeeMode: 1
; LDSByteSize: 16384 bytes/workgroup (compile time only)
; SGPRBlocks: 8
; VGPRBlocks: 7
; NumSGPRsForWavesPerEU: 65
; NumVGPRsForWavesPerEU: 29
; Occupancy: 8
; WaveLimiterHint : 0
; COMPUTE_PGM_RSRC2:SCRATCH_EN: 0
; COMPUTE_PGM_RSRC2:USER_SGPR: 6
; COMPUTE_PGM_RSRC2:TRAP_HANDLER: 0
; COMPUTE_PGM_RSRC2:TGID_X_EN: 1
; COMPUTE_PGM_RSRC2:TGID_Y_EN: 1
; COMPUTE_PGM_RSRC2:TGID_Z_EN: 0
; COMPUTE_PGM_RSRC2:TIDIG_COMP_CNT: 1
	.section	.AMDGPU.gpr_maximums,"",@progbits
	.set amdgpu.max_num_vgpr, 0
	.set amdgpu.max_num_agpr, 0
	.set amdgpu.max_num_sgpr, 0
	.section	.AMDGPU.csdata,"",@progbits
	.type	__hip_cuid_abe6b67339ce563b,@object ; @__hip_cuid_abe6b67339ce563b
	.section	.bss,"aw",@nobits
	.globl	__hip_cuid_abe6b67339ce563b
__hip_cuid_abe6b67339ce563b:
	.byte	0                               ; 0x0
	.size	__hip_cuid_abe6b67339ce563b, 1

	.ident	"AMD clang version 22.0.0git (https://github.com/RadeonOpenCompute/llvm-project roc-7.2.4 26084 f58b06dce1f9c15707c5f808fd002e18c2accf7e)"
	.section	".note.GNU-stack","",@progbits
	.addrsig
	.addrsig_sym __hip_cuid_abe6b67339ce563b
	.amdgpu_metadata
---
amdhsa.kernels:
  - .args:
      - .actual_access:  write_only
        .address_space:  global
        .offset:         0
        .size:           8
        .value_kind:     global_buffer
      - .actual_access:  read_only
        .address_space:  global
        .offset:         8
        .size:           8
        .value_kind:     global_buffer
      - .offset:         16
        .size:           4
        .value_kind:     by_value
      - .offset:         20
        .size:           4
        .value_kind:     by_value
      - .offset:         24
        .size:           4
        .value_kind:     hidden_block_count_x
      - .offset:         28
        .size:           4
        .value_kind:     hidden_block_count_y
      - .offset:         32
        .size:           4
        .value_kind:     hidden_block_count_z
      - .offset:         36
        .size:           2
        .value_kind:     hidden_group_size_x
      - .offset:         38
        .size:           2
        .value_kind:     hidden_group_size_y
      - .offset:         40
        .size:           2
        .value_kind:     hidden_group_size_z
      - .offset:         42
        .size:           2
        .value_kind:     hidden_remainder_x
      - .offset:         44
        .size:           2
        .value_kind:     hidden_remainder_y
      - .offset:         46
        .size:           2
        .value_kind:     hidden_remainder_z
      - .offset:         64
        .size:           8
        .value_kind:     hidden_global_offset_x
      - .offset:         72
        .size:           8
        .value_kind:     hidden_global_offset_y
      - .offset:         80
        .size:           8
        .value_kind:     hidden_global_offset_z
      - .offset:         88
        .size:           2
        .value_kind:     hidden_grid_dims
    .group_segment_fixed_size: 0
    .kernarg_segment_align: 8
    .kernarg_segment_size: 280
    .language:       OpenCL C
    .language_version:
      - 2
      - 0
    .max_flat_workgroup_size: 1024
    .name:           _Z7entropyPfPKcii
    .private_segment_fixed_size: 0
    .sgpr_count:     66
    .sgpr_spill_count: 0
    .symbol:         _Z7entropyPfPKcii.kd
    .uniform_work_group_size: 1
    .uses_dynamic_stack: false
    .vgpr_count:     27
    .vgpr_spill_count: 0
    .wavefront_size: 64
  - .args:
      - .actual_access:  write_only
        .address_space:  global
        .offset:         0
        .size:           8
        .value_kind:     global_buffer
      - .actual_access:  read_only
        .address_space:  global
        .offset:         8
        .size:           8
        .value_kind:     global_buffer
      - .actual_access:  read_only
        .address_space:  global
        .offset:         16
        .size:           8
        .value_kind:     global_buffer
      - .offset:         24
        .size:           4
        .value_kind:     by_value
      - .offset:         28
        .size:           4
        .value_kind:     by_value
      - .offset:         32
        .size:           4
        .value_kind:     hidden_block_count_x
      - .offset:         36
        .size:           4
        .value_kind:     hidden_block_count_y
      - .offset:         40
        .size:           4
        .value_kind:     hidden_block_count_z
      - .offset:         44
        .size:           2
        .value_kind:     hidden_group_size_x
      - .offset:         46
        .size:           2
        .value_kind:     hidden_group_size_y
      - .offset:         48
        .size:           2
        .value_kind:     hidden_group_size_z
      - .offset:         50
        .size:           2
        .value_kind:     hidden_remainder_x
      - .offset:         52
        .size:           2
        .value_kind:     hidden_remainder_y
      - .offset:         54
        .size:           2
        .value_kind:     hidden_remainder_z
      - .offset:         72
        .size:           8
        .value_kind:     hidden_global_offset_x
      - .offset:         80
        .size:           8
        .value_kind:     hidden_global_offset_y
      - .offset:         88
        .size:           8
        .value_kind:     hidden_global_offset_z
      - .offset:         96
        .size:           2
        .value_kind:     hidden_grid_dims
    .group_segment_fixed_size: 16384
    .kernarg_segment_align: 8
    .kernarg_segment_size: 288
    .language:       OpenCL C
    .language_version:
      - 2
      - 0
    .max_flat_workgroup_size: 1024
    .name:           _Z11entropy_optILi16ELi16EEvPfPKcPKfii
    .private_segment_fixed_size: 0
    .sgpr_count:     36
    .sgpr_spill_count: 0
    .symbol:         _Z11entropy_optILi16ELi16EEvPfPKcPKfii.kd
    .uniform_work_group_size: 1
    .uses_dynamic_stack: false
    .vgpr_count:     12
    .vgpr_spill_count: 0
    .wavefront_size: 64
amdhsa.target:   amdgcn-amd-amdhsa--gfx906
amdhsa.version:
  - 1
  - 2
...

	.end_amdgpu_metadata
